;; amdgpu-corpus repo=ROCm/rocFFT kind=compiled arch=gfx1030 opt=O3
	.text
	.amdgcn_target "amdgcn-amd-amdhsa--gfx1030"
	.amdhsa_code_object_version 6
	.protected	fft_rtc_fwd_len1925_factors_7_11_5_5_wgs_55_tpt_55_halfLds_half_ip_CI_sbrr_dirReg ; -- Begin function fft_rtc_fwd_len1925_factors_7_11_5_5_wgs_55_tpt_55_halfLds_half_ip_CI_sbrr_dirReg
	.globl	fft_rtc_fwd_len1925_factors_7_11_5_5_wgs_55_tpt_55_halfLds_half_ip_CI_sbrr_dirReg
	.p2align	8
	.type	fft_rtc_fwd_len1925_factors_7_11_5_5_wgs_55_tpt_55_halfLds_half_ip_CI_sbrr_dirReg,@function
fft_rtc_fwd_len1925_factors_7_11_5_5_wgs_55_tpt_55_halfLds_half_ip_CI_sbrr_dirReg: ; @fft_rtc_fwd_len1925_factors_7_11_5_5_wgs_55_tpt_55_halfLds_half_ip_CI_sbrr_dirReg
; %bb.0:
	s_clause 0x2
	s_load_dwordx2 s[14:15], s[4:5], 0x18
	s_load_dwordx4 s[8:11], s[4:5], 0x0
	s_load_dwordx2 s[12:13], s[4:5], 0x50
	v_mul_u32_u24_e32 v1, 0x4a8, v0
	v_mov_b32_e32 v3, 0
	v_add_nc_u32_sdwa v5, s6, v1 dst_sel:DWORD dst_unused:UNUSED_PAD src0_sel:DWORD src1_sel:WORD_1
	v_mov_b32_e32 v1, 0
	v_mov_b32_e32 v6, v3
	v_mov_b32_e32 v2, 0
	s_waitcnt lgkmcnt(0)
	s_load_dwordx2 s[2:3], s[14:15], 0x0
	v_cmp_lt_u64_e64 s0, s[10:11], 2
	s_and_b32 vcc_lo, exec_lo, s0
	s_cbranch_vccnz .LBB0_8
; %bb.1:
	s_load_dwordx2 s[0:1], s[4:5], 0x10
	v_mov_b32_e32 v1, 0
	s_add_u32 s6, s14, 8
	v_mov_b32_e32 v2, 0
	s_addc_u32 s7, s15, 0
	s_mov_b64 s[18:19], 1
	s_waitcnt lgkmcnt(0)
	s_add_u32 s16, s0, 8
	s_addc_u32 s17, s1, 0
.LBB0_2:                                ; =>This Inner Loop Header: Depth=1
	s_load_dwordx2 s[20:21], s[16:17], 0x0
                                        ; implicit-def: $vgpr7_vgpr8
	s_mov_b32 s0, exec_lo
	s_waitcnt lgkmcnt(0)
	v_or_b32_e32 v4, s21, v6
	v_cmpx_ne_u64_e32 0, v[3:4]
	s_xor_b32 s1, exec_lo, s0
	s_cbranch_execz .LBB0_4
; %bb.3:                                ;   in Loop: Header=BB0_2 Depth=1
	v_cvt_f32_u32_e32 v4, s20
	v_cvt_f32_u32_e32 v7, s21
	s_sub_u32 s0, 0, s20
	s_subb_u32 s22, 0, s21
	v_fmac_f32_e32 v4, 0x4f800000, v7
	v_rcp_f32_e32 v4, v4
	v_mul_f32_e32 v4, 0x5f7ffffc, v4
	v_mul_f32_e32 v7, 0x2f800000, v4
	v_trunc_f32_e32 v7, v7
	v_fmac_f32_e32 v4, 0xcf800000, v7
	v_cvt_u32_f32_e32 v7, v7
	v_cvt_u32_f32_e32 v4, v4
	v_mul_lo_u32 v8, s0, v7
	v_mul_hi_u32 v9, s0, v4
	v_mul_lo_u32 v10, s22, v4
	v_add_nc_u32_e32 v8, v9, v8
	v_mul_lo_u32 v9, s0, v4
	v_add_nc_u32_e32 v8, v8, v10
	v_mul_hi_u32 v10, v4, v9
	v_mul_lo_u32 v11, v4, v8
	v_mul_hi_u32 v12, v4, v8
	v_mul_hi_u32 v13, v7, v9
	v_mul_lo_u32 v9, v7, v9
	v_mul_hi_u32 v14, v7, v8
	v_mul_lo_u32 v8, v7, v8
	v_add_co_u32 v10, vcc_lo, v10, v11
	v_add_co_ci_u32_e32 v11, vcc_lo, 0, v12, vcc_lo
	v_add_co_u32 v9, vcc_lo, v10, v9
	v_add_co_ci_u32_e32 v9, vcc_lo, v11, v13, vcc_lo
	v_add_co_ci_u32_e32 v10, vcc_lo, 0, v14, vcc_lo
	v_add_co_u32 v8, vcc_lo, v9, v8
	v_add_co_ci_u32_e32 v9, vcc_lo, 0, v10, vcc_lo
	v_add_co_u32 v4, vcc_lo, v4, v8
	v_add_co_ci_u32_e32 v7, vcc_lo, v7, v9, vcc_lo
	v_mul_hi_u32 v8, s0, v4
	v_mul_lo_u32 v10, s22, v4
	v_mul_lo_u32 v9, s0, v7
	v_add_nc_u32_e32 v8, v8, v9
	v_mul_lo_u32 v9, s0, v4
	v_add_nc_u32_e32 v8, v8, v10
	v_mul_hi_u32 v10, v4, v9
	v_mul_lo_u32 v11, v4, v8
	v_mul_hi_u32 v12, v4, v8
	v_mul_hi_u32 v13, v7, v9
	v_mul_lo_u32 v9, v7, v9
	v_mul_hi_u32 v14, v7, v8
	v_mul_lo_u32 v8, v7, v8
	v_add_co_u32 v10, vcc_lo, v10, v11
	v_add_co_ci_u32_e32 v11, vcc_lo, 0, v12, vcc_lo
	v_add_co_u32 v9, vcc_lo, v10, v9
	v_add_co_ci_u32_e32 v9, vcc_lo, v11, v13, vcc_lo
	v_add_co_ci_u32_e32 v10, vcc_lo, 0, v14, vcc_lo
	v_add_co_u32 v8, vcc_lo, v9, v8
	v_add_co_ci_u32_e32 v9, vcc_lo, 0, v10, vcc_lo
	v_add_co_u32 v4, vcc_lo, v4, v8
	v_add_co_ci_u32_e32 v11, vcc_lo, v7, v9, vcc_lo
	v_mul_hi_u32 v13, v5, v4
	v_mad_u64_u32 v[9:10], null, v6, v4, 0
	v_mad_u64_u32 v[7:8], null, v5, v11, 0
	;; [unrolled: 1-line block ×3, first 2 shown]
	v_add_co_u32 v4, vcc_lo, v13, v7
	v_add_co_ci_u32_e32 v7, vcc_lo, 0, v8, vcc_lo
	v_add_co_u32 v4, vcc_lo, v4, v9
	v_add_co_ci_u32_e32 v4, vcc_lo, v7, v10, vcc_lo
	v_add_co_ci_u32_e32 v7, vcc_lo, 0, v12, vcc_lo
	v_add_co_u32 v4, vcc_lo, v4, v11
	v_add_co_ci_u32_e32 v9, vcc_lo, 0, v7, vcc_lo
	v_mul_lo_u32 v10, s21, v4
	v_mad_u64_u32 v[7:8], null, s20, v4, 0
	v_mul_lo_u32 v11, s20, v9
	v_sub_co_u32 v7, vcc_lo, v5, v7
	v_add3_u32 v8, v8, v11, v10
	v_sub_nc_u32_e32 v10, v6, v8
	v_subrev_co_ci_u32_e64 v10, s0, s21, v10, vcc_lo
	v_add_co_u32 v11, s0, v4, 2
	v_add_co_ci_u32_e64 v12, s0, 0, v9, s0
	v_sub_co_u32 v13, s0, v7, s20
	v_sub_co_ci_u32_e32 v8, vcc_lo, v6, v8, vcc_lo
	v_subrev_co_ci_u32_e64 v10, s0, 0, v10, s0
	v_cmp_le_u32_e32 vcc_lo, s20, v13
	v_cmp_eq_u32_e64 s0, s21, v8
	v_cndmask_b32_e64 v13, 0, -1, vcc_lo
	v_cmp_le_u32_e32 vcc_lo, s21, v10
	v_cndmask_b32_e64 v14, 0, -1, vcc_lo
	v_cmp_le_u32_e32 vcc_lo, s20, v7
	;; [unrolled: 2-line block ×3, first 2 shown]
	v_cndmask_b32_e64 v15, 0, -1, vcc_lo
	v_cmp_eq_u32_e32 vcc_lo, s21, v10
	v_cndmask_b32_e64 v7, v15, v7, s0
	v_cndmask_b32_e32 v10, v14, v13, vcc_lo
	v_add_co_u32 v13, vcc_lo, v4, 1
	v_add_co_ci_u32_e32 v14, vcc_lo, 0, v9, vcc_lo
	v_cmp_ne_u32_e32 vcc_lo, 0, v10
	v_cndmask_b32_e32 v8, v14, v12, vcc_lo
	v_cndmask_b32_e32 v10, v13, v11, vcc_lo
	v_cmp_ne_u32_e32 vcc_lo, 0, v7
	v_cndmask_b32_e32 v8, v9, v8, vcc_lo
	v_cndmask_b32_e32 v7, v4, v10, vcc_lo
.LBB0_4:                                ;   in Loop: Header=BB0_2 Depth=1
	s_andn2_saveexec_b32 s0, s1
	s_cbranch_execz .LBB0_6
; %bb.5:                                ;   in Loop: Header=BB0_2 Depth=1
	v_cvt_f32_u32_e32 v4, s20
	s_sub_i32 s1, 0, s20
	v_rcp_iflag_f32_e32 v4, v4
	v_mul_f32_e32 v4, 0x4f7ffffe, v4
	v_cvt_u32_f32_e32 v4, v4
	v_mul_lo_u32 v7, s1, v4
	v_mul_hi_u32 v7, v4, v7
	v_add_nc_u32_e32 v4, v4, v7
	v_mul_hi_u32 v4, v5, v4
	v_mul_lo_u32 v7, v4, s20
	v_add_nc_u32_e32 v8, 1, v4
	v_sub_nc_u32_e32 v7, v5, v7
	v_subrev_nc_u32_e32 v9, s20, v7
	v_cmp_le_u32_e32 vcc_lo, s20, v7
	v_cndmask_b32_e32 v7, v7, v9, vcc_lo
	v_cndmask_b32_e32 v4, v4, v8, vcc_lo
	v_cmp_le_u32_e32 vcc_lo, s20, v7
	v_add_nc_u32_e32 v8, 1, v4
	v_cndmask_b32_e32 v7, v4, v8, vcc_lo
	v_mov_b32_e32 v8, v3
.LBB0_6:                                ;   in Loop: Header=BB0_2 Depth=1
	s_or_b32 exec_lo, exec_lo, s0
	s_load_dwordx2 s[0:1], s[6:7], 0x0
	v_mul_lo_u32 v4, v8, s20
	v_mul_lo_u32 v11, v7, s21
	v_mad_u64_u32 v[9:10], null, v7, s20, 0
	s_add_u32 s18, s18, 1
	s_addc_u32 s19, s19, 0
	s_add_u32 s6, s6, 8
	s_addc_u32 s7, s7, 0
	;; [unrolled: 2-line block ×3, first 2 shown]
	v_add3_u32 v4, v10, v11, v4
	v_sub_co_u32 v5, vcc_lo, v5, v9
	v_sub_co_ci_u32_e32 v4, vcc_lo, v6, v4, vcc_lo
	s_waitcnt lgkmcnt(0)
	v_mul_lo_u32 v6, s1, v5
	v_mul_lo_u32 v4, s0, v4
	v_mad_u64_u32 v[1:2], null, s0, v5, v[1:2]
	v_cmp_ge_u64_e64 s0, s[18:19], s[10:11]
	s_and_b32 vcc_lo, exec_lo, s0
	v_add3_u32 v2, v6, v2, v4
	s_cbranch_vccnz .LBB0_9
; %bb.7:                                ;   in Loop: Header=BB0_2 Depth=1
	v_mov_b32_e32 v5, v7
	v_mov_b32_e32 v6, v8
	s_branch .LBB0_2
.LBB0_8:
	v_mov_b32_e32 v8, v6
	v_mov_b32_e32 v7, v5
.LBB0_9:
	s_lshl_b64 s[0:1], s[10:11], 3
	v_mul_hi_u32 v3, 0x4a7904b, v0
	s_add_u32 s0, s14, s0
	s_addc_u32 s1, s15, s1
	s_load_dwordx2 s[4:5], s[4:5], 0x20
	s_load_dwordx2 s[0:1], s[0:1], 0x0
                                        ; implicit-def: $vgpr53
                                        ; implicit-def: $vgpr12
                                        ; implicit-def: $vgpr13
	v_mul_u32_u24_e32 v3, 55, v3
	v_sub_nc_u32_e32 v50, v0, v3
	v_add_nc_u32_e32 v45, 55, v50
	v_add_nc_u32_e32 v41, 0x6e, v50
	v_add_nc_u32_e32 v35, 0xa5, v50
	v_add_nc_u32_e32 v32, 0xdc, v50
	s_waitcnt lgkmcnt(0)
	v_cmp_gt_u64_e32 vcc_lo, s[4:5], v[7:8]
	v_mul_lo_u32 v3, s0, v8
	v_mul_lo_u32 v4, s1, v7
	v_mad_u64_u32 v[0:1], null, s0, v7, v[1:2]
	v_cmp_le_u64_e64 s0, s[4:5], v[7:8]
                                        ; implicit-def: $sgpr4
                                        ; implicit-def: $vgpr8
	v_add3_u32 v1, v4, v1, v3
	s_and_saveexec_b32 s1, s0
	s_xor_b32 s0, exec_lo, s1
; %bb.10:
	v_add_nc_u32_e32 v53, 55, v50
	v_add_nc_u32_e32 v12, 0x6e, v50
	;; [unrolled: 1-line block ×4, first 2 shown]
	s_mov_b32 s4, 0
; %bb.11:
	s_or_saveexec_b32 s1, s0
	v_lshlrev_b64 v[20:21], 2, v[0:1]
	v_mov_b32_e32 v9, s4
	v_add_nc_u32_e32 v31, 0x113, v50
	v_add_nc_u32_e32 v37, 0x226, v50
	;; [unrolled: 1-line block ×22, first 2 shown]
	v_mov_b32_e32 v10, s4
	v_mov_b32_e32 v23, s4
	;; [unrolled: 1-line block ×19, first 2 shown]
                                        ; implicit-def: $vgpr85
                                        ; implicit-def: $vgpr86
                                        ; implicit-def: $vgpr66
                                        ; implicit-def: $vgpr80
                                        ; implicit-def: $vgpr75
                                        ; implicit-def: $vgpr59
                                        ; implicit-def: $vgpr79
                                        ; implicit-def: $vgpr71
                                        ; implicit-def: $vgpr88
                                        ; implicit-def: $vgpr68
                                        ; implicit-def: $vgpr2
                                        ; implicit-def: $vgpr3
                                        ; implicit-def: $vgpr6
                                        ; implicit-def: $vgpr7
                                        ; implicit-def: $vgpr11
                                        ; implicit-def: $vgpr16
                                        ; implicit-def: $vgpr69
                                        ; implicit-def: $vgpr72
                                        ; implicit-def: $vgpr90
                                        ; implicit-def: $vgpr93
	s_xor_b32 exec_lo, exec_lo, s1
	s_cbranch_execz .LBB0_13
; %bb.12:
	v_mad_u64_u32 v[0:1], null, s2, v50, 0
	v_mad_u64_u32 v[2:3], null, s2, v31, 0
	;; [unrolled: 1-line block ×4, first 2 shown]
	v_add_nc_u32_e32 v16, 0x44c, v50
	v_add_nc_u32_e32 v18, 0x55f, v50
	v_mad_u64_u32 v[6:7], null, s3, v50, v[1:2]
	v_mov_b32_e32 v1, v5
	v_mad_u64_u32 v[7:8], null, s3, v31, v[3:4]
	v_mad_u64_u32 v[14:15], null, s2, v18, 0
	;; [unrolled: 1-line block ×3, first 2 shown]
	v_mov_b32_e32 v1, v6
	v_mov_b32_e32 v6, v10
	;; [unrolled: 1-line block ×3, first 2 shown]
	v_add_co_u32 v8, s0, s12, v20
	v_lshlrev_b64 v[0:1], 2, v[0:1]
	v_mov_b32_e32 v5, v12
	v_mad_u64_u32 v[12:13], null, s2, v16, 0
	v_mad_u64_u32 v[6:7], null, s3, v46, v[6:7]
	v_add_co_ci_u32_e64 v11, s0, s13, v21, s0
	v_lshlrev_b64 v[2:3], 2, v[2:3]
	v_add_co_u32 v0, s0, v8, v0
	v_mov_b32_e32 v7, v13
	v_mov_b32_e32 v10, v6
	v_lshlrev_b64 v[4:5], 2, v[4:5]
	v_add_co_ci_u32_e64 v1, s0, v11, v1, s0
	v_mad_u64_u32 v[6:7], null, s3, v16, v[7:8]
	v_mov_b32_e32 v7, v15
	v_add_co_u32 v2, s0, v8, v2
	v_lshlrev_b64 v[9:10], 2, v[9:10]
	v_add_co_ci_u32_e64 v3, s0, v11, v3, s0
	v_mad_u64_u32 v[18:19], null, s3, v18, v[7:8]
	v_add_co_u32 v4, s0, v8, v4
	v_mov_b32_e32 v13, v6
	v_mad_u64_u32 v[16:17], null, s2, v38, 0
	v_add_co_ci_u32_e64 v5, s0, v11, v5, s0
	v_add_co_u32 v6, s0, v8, v9
	v_mov_b32_e32 v15, v18
	v_mad_u64_u32 v[18:19], null, s2, v45, 0
	v_add_co_ci_u32_e64 v7, s0, v11, v10, s0
	v_lshlrev_b64 v[9:10], 2, v[12:13]
	v_mov_b32_e32 v12, v17
	v_mad_u64_u32 v[22:23], null, s2, v26, 0
	v_add_nc_u32_e32 v55, 0x25d, v50
	v_mad_u64_u32 v[61:62], null, s2, v33, 0
	v_add_co_u32 v24, s0, v8, v9
	v_mov_b32_e32 v9, v19
	v_mad_u64_u32 v[12:13], null, s3, v38, v[12:13]
	v_add_co_ci_u32_e64 v25, s0, v11, v10, s0
	v_mad_u64_u32 v[9:10], null, s3, v45, v[9:10]
	v_lshlrev_b64 v[13:14], 2, v[14:15]
	v_mov_b32_e32 v10, v23
	v_mad_u64_u32 v[53:54], null, s2, v55, 0
	v_mov_b32_e32 v17, v12
	v_mad_u64_u32 v[63:64], null, s2, v52, 0
	;; [unrolled: 2-line block ×3, first 2 shown]
	v_add_co_u32 v12, s0, v8, v13
	v_add_co_ci_u32_e64 v13, s0, v11, v14, s0
	v_lshlrev_b64 v[14:15], 2, v[16:17]
	v_mov_b32_e32 v10, v54
	v_mad_u64_u32 v[16:17], null, s2, v39, 0
	v_lshlrev_b64 v[18:19], 2, v[18:19]
	v_mov_b32_e32 v23, v9
	v_mad_u64_u32 v[9:10], null, s3, v55, v[10:11]
	v_add_co_u32 v14, s0, v8, v14
	v_mov_b32_e32 v10, v17
	v_mad_u64_u32 v[55:56], null, s2, v48, 0
	v_add_co_ci_u32_e64 v15, s0, v11, v15, s0
	v_add_co_u32 v57, s0, v8, v18
	v_lshlrev_b64 v[17:18], 2, v[22:23]
	v_mov_b32_e32 v54, v9
	v_mad_u64_u32 v[9:10], null, s3, v39, v[10:11]
	v_mad_u64_u32 v[22:23], null, s2, v28, 0
	v_add_co_ci_u32_e64 v58, s0, v11, v19, s0
	v_mov_b32_e32 v10, v56
	v_add_co_u32 v59, s0, v8, v17
	v_add_co_ci_u32_e64 v60, s0, v11, v18, s0
	v_lshlrev_b64 v[18:19], 2, v[53:54]
	v_mov_b32_e32 v17, v9
	v_mad_u64_u32 v[9:10], null, s3, v48, v[10:11]
	v_mov_b32_e32 v10, v23
	v_add_nc_u32_e32 v75, 0x6e0, v50
	v_add_co_u32 v53, s0, v8, v18
	v_add_co_ci_u32_e64 v54, s0, v11, v19, s0
	v_mad_u64_u32 v[18:19], null, s3, v28, v[10:11]
	v_mov_b32_e32 v56, v9
	v_lshlrev_b64 v[16:17], 2, v[16:17]
	v_add_nc_u32_e32 v67, 0x5cd, v50
	v_mad_u64_u32 v[86:87], null, s2, v47, 0
	v_lshlrev_b64 v[9:10], 2, v[55:56]
	v_mov_b32_e32 v23, v18
	v_mov_b32_e32 v18, v62
	v_mad_u64_u32 v[55:56], null, s2, v41, 0
	v_add_co_u32 v16, s0, v8, v16
	v_add_co_ci_u32_e64 v17, s0, v11, v17, s0
	v_mad_u64_u32 v[18:19], null, s3, v33, v[18:19]
	v_add_co_u32 v65, s0, v8, v9
	v_add_co_ci_u32_e64 v66, s0, v11, v10, s0
	v_mov_b32_e32 v9, v56
	v_mov_b32_e32 v10, v64
	v_lshlrev_b64 v[22:23], 2, v[22:23]
	v_mov_b32_e32 v62, v18
	v_mad_u64_u32 v[99:100], null, s2, v34, 0
	v_mad_u64_u32 v[18:19], null, s3, v41, v[9:10]
	v_add_co_u32 v69, s0, v8, v22
	v_mad_u64_u32 v[9:10], null, s3, v52, v[10:11]
	v_add_co_ci_u32_e64 v70, s0, v11, v23, s0
	v_lshlrev_b64 v[22:23], 2, v[61:62]
	v_mov_b32_e32 v56, v18
	v_mad_u64_u32 v[18:19], null, s2, v30, 0
	v_mad_u64_u32 v[61:62], null, s2, v36, 0
	v_mov_b32_e32 v64, v9
	v_add_co_u32 v71, s0, v8, v22
	v_add_co_ci_u32_e64 v72, s0, v11, v23, s0
	v_mov_b32_e32 v9, v19
	v_mov_b32_e32 v10, v62
	v_lshlrev_b64 v[22:23], 2, v[55:56]
	v_lshlrev_b64 v[55:56], 2, v[63:64]
	v_mad_u64_u32 v[103:104], null, s2, v43, 0
	v_mad_u64_u32 v[62:63], null, s3, v30, v[9:10]
	;; [unrolled: 1-line block ×4, first 2 shown]
	v_add_co_u32 v73, s0, v8, v22
	v_add_co_ci_u32_e64 v74, s0, v11, v23, s0
	v_add_co_u32 v76, s0, v8, v55
	v_mov_b32_e32 v19, v62
	v_add_co_ci_u32_e64 v77, s0, v11, v56, s0
	v_mov_b32_e32 v22, v64
	v_mad_u64_u32 v[55:56], null, s2, v75, 0
	v_mov_b32_e32 v62, v9
	v_mad_u64_u32 v[9:10], null, s2, v67, 0
	v_lshlrev_b64 v[18:19], 2, v[18:19]
	v_mad_u64_u32 v[22:23], null, s3, v44, v[22:23]
	v_mov_b32_e32 v23, v56
	v_lshlrev_b64 v[61:62], 2, v[61:62]
	v_mad_u64_u32 v[67:68], null, s3, v67, v[10:11]
	v_add_co_u32 v78, s0, v8, v18
	v_add_co_ci_u32_e64 v79, s0, v11, v19, s0
	v_mov_b32_e32 v64, v22
	v_mad_u64_u32 v[18:19], null, s3, v75, v[23:24]
	v_mov_b32_e32 v10, v67
	v_add_co_u32 v61, s0, v8, v61
	v_lshlrev_b64 v[22:23], 2, v[63:64]
	v_mad_u64_u32 v[63:64], null, s2, v35, 0
	v_mov_b32_e32 v56, v18
	v_lshlrev_b64 v[9:10], 2, v[9:10]
	v_add_co_ci_u32_e64 v62, s0, v11, v62, s0
	v_add_co_u32 v80, s0, v8, v22
	v_lshlrev_b64 v[18:19], 2, v[55:56]
	v_mov_b32_e32 v22, v64
	v_add_nc_u32_e32 v55, 0x3de, v50
	v_add_co_ci_u32_e64 v81, s0, v11, v23, s0
	v_add_co_u32 v82, s0, v8, v9
	v_add_co_ci_u32_e64 v83, s0, v11, v10, s0
	v_mad_u64_u32 v[9:10], null, s3, v35, v[22:23]
	v_mad_u64_u32 v[22:23], null, s2, v55, 0
	v_add_nc_u32_e32 v68, 0x2cb, v50
	v_add_co_u32 v84, s0, v8, v18
	v_add_co_ci_u32_e64 v85, s0, v11, v19, s0
	v_mov_b32_e32 v64, v9
	v_mov_b32_e32 v10, v23
	v_mad_u64_u32 v[88:89], null, s2, v68, 0
	v_mad_u64_u32 v[18:19], null, s2, v40, 0
	v_mad_u64_u32 v[9:10], null, s3, v55, v[10:11]
	v_mad_u64_u32 v[55:56], null, s2, v49, 0
	v_mov_b32_e32 v10, v87
	v_mov_b32_e32 v67, v89
	v_add_nc_u32_e32 v75, 0x74e, v50
	v_mov_b32_e32 v23, v9
	v_mad_u64_u32 v[89:90], null, s3, v47, v[10:11]
	v_mov_b32_e32 v9, v19
	v_mov_b32_e32 v10, v56
	v_lshlrev_b64 v[22:23], 2, v[22:23]
	v_mad_u64_u32 v[67:68], null, s3, v68, v[67:68]
	v_mad_u64_u32 v[105:106], null, s2, v75, 0
	;; [unrolled: 1-line block ×5, first 2 shown]
	v_add_co_u32 v93, s0, v8, v22
	v_mov_b32_e32 v19, v90
	v_add_co_ci_u32_e64 v94, s0, v11, v23, s0
	v_mov_b32_e32 v56, v9
	v_mov_b32_e32 v9, v92
	v_mad_u64_u32 v[22:23], null, s2, v32, 0
	v_lshlrev_b64 v[18:19], 2, v[18:19]
	v_mov_b32_e32 v87, v89
	v_mad_u64_u32 v[9:10], null, s3, v27, v[9:10]
	v_mov_b32_e32 v89, v67
	v_mad_u64_u32 v[67:68], null, s2, v51, 0
	v_mov_b32_e32 v10, v23
	v_add_co_u32 v95, s0, v8, v18
	v_add_co_ci_u32_e64 v96, s0, v11, v19, s0
	v_lshlrev_b64 v[18:19], 2, v[55:56]
	v_mad_u64_u32 v[55:56], null, s2, v42, 0
	v_mov_b32_e32 v92, v9
	v_mad_u64_u32 v[9:10], null, s3, v32, v[10:11]
	v_add_co_u32 v97, s0, v8, v18
	v_add_co_ci_u32_e64 v98, s0, v11, v19, s0
	v_mov_b32_e32 v10, v56
	v_lshlrev_b64 v[18:19], 2, v[91:92]
	v_mov_b32_e32 v23, v9
	v_mad_u64_u32 v[90:91], null, s3, v42, v[10:11]
	v_add_co_u32 v91, s0, v8, v18
	v_lshlrev_b64 v[9:10], 2, v[22:23]
	v_mov_b32_e32 v18, v68
	v_mad_u64_u32 v[22:23], null, s2, v29, 0
	v_add_co_ci_u32_e64 v92, s0, v11, v19, s0
	v_mad_u64_u32 v[18:19], null, s3, v51, v[18:19]
	v_add_co_u32 v101, s0, v8, v9
	v_mov_b32_e32 v56, v90
	v_add_co_ci_u32_e64 v102, s0, v11, v10, s0
	v_mov_b32_e32 v9, v23
	v_mov_b32_e32 v10, v100
	;; [unrolled: 1-line block ×3, first 2 shown]
	v_lshlrev_b64 v[18:19], 2, v[55:56]
	v_mad_u64_u32 v[55:56], null, s3, v29, v[9:10]
	v_mad_u64_u32 v[9:10], null, s3, v34, v[10:11]
	v_mov_b32_e32 v10, v104
	v_add_co_u32 v107, s0, v8, v18
	v_add_co_ci_u32_e64 v108, s0, v11, v19, s0
	v_mov_b32_e32 v23, v55
	v_mov_b32_e32 v100, v9
	;; [unrolled: 1-line block ×3, first 2 shown]
	v_lshlrev_b64 v[18:19], 2, v[67:68]
	v_mad_u64_u32 v[55:56], null, s3, v43, v[10:11]
	v_lshlrev_b64 v[22:23], 2, v[22:23]
	v_mad_u64_u32 v[9:10], null, s3, v75, v[9:10]
	v_add_co_u32 v109, s0, v8, v18
	v_add_co_ci_u32_e64 v110, s0, v11, v19, s0
	v_lshlrev_b64 v[18:19], 2, v[99:100]
	v_mov_b32_e32 v104, v55
	v_add_co_u32 v99, s0, v8, v22
	v_mov_b32_e32 v106, v9
	v_add_co_ci_u32_e64 v100, s0, v11, v23, s0
	v_lshlrev_b64 v[9:10], 2, v[103:104]
	v_add_co_u32 v103, s0, v8, v18
	v_add_co_ci_u32_e64 v104, s0, v11, v19, s0
	v_lshlrev_b64 v[18:19], 2, v[105:106]
	v_add_co_u32 v105, s0, v8, v9
	v_add_co_ci_u32_e64 v106, s0, v11, v10, s0
	v_add_co_u32 v111, s0, v8, v18
	v_add_co_ci_u32_e64 v112, s0, v11, v19, s0
	s_clause 0x12
	global_load_dword v10, v[0:1], off
	global_load_dword v9, v[2:3], off
	;; [unrolled: 1-line block ×19, first 2 shown]
	v_lshlrev_b64 v[1:2], 2, v[63:64]
	v_lshlrev_b64 v[3:4], 2, v[86:87]
	;; [unrolled: 1-line block ×3, first 2 shown]
	s_clause 0xa
	global_load_dword v60, v[93:94], off
	global_load_dword v15, v[95:96], off
	;; [unrolled: 1-line block ×11, first 2 shown]
	v_add_co_u32 v1, s0, v8, v1
	v_add_co_ci_u32_e64 v2, s0, v11, v2, s0
	v_add_co_u32 v12, s0, v8, v3
	v_add_co_ci_u32_e64 v13, s0, v11, v4, s0
	v_add_co_u32 v6, s0, v8, v6
	v_add_co_ci_u32_e64 v7, s0, v11, v7, s0
	s_clause 0x4
	global_load_dword v4, v[73:74], off
	global_load_dword v70, v[76:77], off
	;; [unrolled: 1-line block ×5, first 2 shown]
	v_mov_b32_e32 v8, v32
	v_mov_b32_e32 v13, v35
	;; [unrolled: 1-line block ×3, first 2 shown]
	s_waitcnt vmcnt(29)
	v_lshrrev_b32_e32 v85, 16, v25
	v_perm_b32 v90, v25, v113, 0x5040100
	s_waitcnt vmcnt(28)
	v_perm_b32 v93, v68, v113, 0x7060302
	s_waitcnt vmcnt(22)
	v_lshrrev_b32_e32 v86, 16, v54
	v_perm_b32 v69, v54, v53, 0x5040100
	s_waitcnt vmcnt(13)
	v_lshrrev_b32_e32 v80, 16, v61
	v_perm_b32 v6, v61, v60, 0x5040100
	s_waitcnt vmcnt(12)
	v_perm_b32 v7, v75, v60, 0x7060302
	v_lshrrev_b32_e32 v88, 16, v58
	v_perm_b32 v11, v58, v16, 0x5040100
	v_perm_b32 v16, v71, v16, 0x7060302
	;; [unrolled: 1-line block ×3, first 2 shown]
	s_waitcnt vmcnt(6)
	v_lshrrev_b32_e32 v59, 16, v63
	v_perm_b32 v2, v63, v62, 0x5040100
	s_waitcnt vmcnt(5)
	v_perm_b32 v3, v79, v62, 0x7060302
	v_mov_b32_e32 v53, v45
.LBB0_13:
	s_or_b32 exec_lo, exec_lo, s1
	v_perm_b32 v97, v55, v19, 0x5040100
	v_add_f16_e32 v25, v68, v9
	v_perm_b32 v99, v9, v19, 0x7060302
	v_sub_f16_sdwa v54, v55, v85 dst_sel:DWORD dst_unused:UNUSED_PAD src0_sel:WORD_1 src1_sel:DWORD
	v_perm_b32 v100, v56, v22, 0x5040100
	v_pk_add_f16 v19, v90, v97
	v_add_f16_e32 v58, v66, v23
	v_pk_add_f16 v60, v99, v93 neg_lo:[0,1] neg_hi:[0,1]
	v_perm_b32 v102, v23, v22, 0x7060302
	v_pk_add_f16 v22, v69, v100
	v_alignbit_b32 v61, v25, v19, 16
	v_add_f16_sdwa v62, v25, v19 dst_sel:DWORD dst_unused:UNUSED_PAD src0_sel:DWORD src1_sel:WORD_1
	v_sub_f16_e32 v25, v25, v19
	v_add_f16_e32 v65, v54, v60
	v_pack_b32_f16 v73, v54, v60
	v_pk_add_f16 v61, v19, v61 neg_lo:[0,1] neg_hi:[0,1]
	v_sub_f16_sdwa v54, v54, v60 dst_sel:DWORD dst_unused:UNUSED_PAD src0_sel:DWORD src1_sel:WORD_1
	v_add_f16_e32 v19, v62, v19
	v_mul_f16_e32 v62, 0xba52, v25
	v_add_f16_sdwa v65, v60, v65 dst_sel:DWORD dst_unused:UNUSED_PAD src0_sel:WORD_1 src1_sel:DWORD
	v_pk_mul_f16 v74, 0x39e02b26, v61
	v_pk_add_f16 v60, v60, v73 neg_lo:[0,1] neg_hi:[0,1]
	v_mul_f16_e32 v54, 0x3b00, v54
	v_add_f16_e32 v73, v19, v10
	v_mul_f16_e32 v76, 0x370e, v65
	v_alignbit_b32 v62, v62, v74, 16
	v_pk_mul_f16 v78, 0x3574b846, v60
	v_pk_fma_f16 v54, 0x3574b846, v60, v54 op_sel_hi:[1,1,0] neg_lo:[0,1,0] neg_hi:[0,1,1]
	v_fmamk_f16 v19, v19, 0xbcab, v73
	v_fmamk_f16 v25, v25, 0x3a52, v74
	v_pk_fma_f16 v60, 0x39e02b26, v61, v62 neg_lo:[0,1,0] neg_hi:[0,1,0]
	v_add_f16_sdwa v74, v78, v78 dst_sel:DWORD dst_unused:UNUSED_PAD src0_sel:WORD_1 src1_sel:DWORD
	v_pk_add_f16 v54, v54, v76 op_sel_hi:[1,0]
	v_sub_f16_sdwa v63, v56, v86 dst_sel:DWORD dst_unused:UNUSED_PAD src0_sel:WORD_1 src1_sel:DWORD
	v_add_f16_e32 v25, v25, v19
	v_pk_add_f16 v60, v60, v19 op_sel_hi:[1,0]
	v_fmac_f16_e32 v74, 0x370e, v65
	v_mad_u32_u24 v19, v50, 14, 0
	v_perm_b32 v105, v57, v18, 0x5040100
	s_waitcnt vmcnt(3)
	v_add_f16_e32 v64, v71, v70
	v_pk_add_f16 v61, v60, v54
	v_pk_add_f16 v54, v60, v54 neg_lo:[0,1] neg_hi:[0,1]
	v_add_f16_e32 v60, v25, v74
	v_sub_f16_e32 v25, v25, v74
	v_perm_b32 v106, v70, v18, 0x7060302
	v_sub_f16_sdwa v81, v57, v88 dst_sel:DWORD dst_unused:UNUSED_PAD src0_sel:WORD_1 src1_sel:DWORD
	v_bfi_b32 v62, 0xffff, v61, v54
	v_alignbit_b32 v61, v54, v61, 16
	v_pack_b32_f16 v60, v73, v60
	v_pk_add_f16 v73, v102, v72 neg_lo:[0,1] neg_hi:[0,1]
	ds_write_b16 v19, v25 offset:12
	v_add_f16_sdwa v25, v58, v22 dst_sel:DWORD dst_unused:UNUSED_PAD src0_sel:DWORD src1_sel:WORD_1
	s_waitcnt vmcnt(0)
	v_perm_b32 v109, v77, v15, 0x5040100
	ds_write_b96 v19, v[60:62]
	v_alignbit_b32 v60, v58, v22, 16
	v_pack_b32_f16 v61, v63, v73
	v_sub_f16_e32 v58, v58, v22
	v_add_f16_e32 v62, v63, v73
	v_sub_f16_sdwa v63, v63, v73 dst_sel:DWORD dst_unused:UNUSED_PAD src0_sel:DWORD src1_sel:WORD_1
	v_pk_add_f16 v60, v22, v60 neg_lo:[0,1] neg_hi:[0,1]
	v_add_f16_e32 v22, v25, v22
	v_pk_add_f16 v25, v73, v61 neg_lo:[0,1] neg_hi:[0,1]
	v_mul_f16_e32 v61, 0xba52, v58
	v_add_f16_sdwa v62, v73, v62 dst_sel:DWORD dst_unused:UNUSED_PAD src0_sel:WORD_1 src1_sel:DWORD
	v_pk_mul_f16 v74, 0x39e02b26, v60
	v_add_f16_e32 v82, v22, v5
	v_mul_f16_e32 v63, 0x3b00, v63
	v_pk_mul_f16 v73, 0x3574b846, v25
	v_add_f16_e32 v76, v75, v67
	v_alignbit_b32 v61, v61, v74, 16
	v_fmamk_f16 v22, v22, 0xbcab, v82
	v_fmamk_f16 v58, v58, 0x3a52, v74
	v_mul_f16_e32 v74, 0x370e, v62
	v_pk_fma_f16 v25, 0x3574b846, v25, v63 op_sel_hi:[1,1,0] neg_lo:[0,1,0] neg_hi:[0,1,1]
	v_pk_fma_f16 v60, 0x39e02b26, v60, v61 neg_lo:[0,1,0] neg_hi:[0,1,0]
	v_add_f16_sdwa v61, v73, v73 dst_sel:DWORD dst_unused:UNUSED_PAD src0_sel:WORD_1 src1_sel:DWORD
	v_add_f16_e32 v63, v58, v22
	v_mad_i32_i24 v58, v53, 14, 0
	v_pk_add_f16 v25, v25, v74 op_sel_hi:[1,0]
	v_pk_add_f16 v22, v60, v22 op_sel_hi:[1,0]
	v_pk_add_f16 v60, v11, v105
	v_fmac_f16_e32 v61, 0x370e, v62
	v_pk_add_f16 v62, v106, v16 neg_lo:[0,1] neg_hi:[0,1]
	v_perm_b32 v110, v67, v15, 0x7060302
	v_pk_add_f16 v73, v22, v25
	v_pk_add_f16 v22, v22, v25 neg_lo:[0,1] neg_hi:[0,1]
	v_alignbit_b32 v25, v64, v60, 16
	v_add_f16_e32 v18, v63, v61
	v_sub_f16_e32 v63, v63, v61
	v_add_f16_sdwa v61, v64, v60 dst_sel:DWORD dst_unused:UNUSED_PAD src0_sel:DWORD src1_sel:WORD_1
	v_sub_f16_e32 v64, v64, v60
	v_pk_add_f16 v25, v60, v25 neg_lo:[0,1] neg_hi:[0,1]
	v_add_f16_e32 v74, v81, v62
	v_pack_b32_f16 v83, v81, v62
	v_add_f16_e32 v60, v61, v60
	v_mul_f16_e32 v61, 0xba52, v64
	v_pk_mul_f16 v84, 0x39e02b26, v25
	v_sub_f16_sdwa v81, v81, v62 dst_sel:DWORD dst_unused:UNUSED_PAD src0_sel:DWORD src1_sel:WORD_1
	v_add_f16_sdwa v74, v62, v74 dst_sel:DWORD dst_unused:UNUSED_PAD src0_sel:WORD_1 src1_sel:DWORD
	v_pk_add_f16 v62, v62, v83 neg_lo:[0,1] neg_hi:[0,1]
	v_add_f16_e32 v83, v60, v4
	v_alignbit_b32 v61, v61, v84, 16
	v_mul_f16_e32 v81, 0x3b00, v81
	v_mul_f16_e32 v87, 0x370e, v74
	v_pk_mul_f16 v89, 0x3574b846, v62
	v_fmamk_f16 v91, v60, 0xbcab, v83
	v_pk_fma_f16 v25, 0x39e02b26, v25, v61 neg_lo:[0,1,0] neg_hi:[0,1,0]
	v_pk_fma_f16 v60, 0x3574b846, v62, v81 op_sel_hi:[1,1,0] neg_lo:[0,1,0] neg_hi:[0,1,1]
	v_fmamk_f16 v64, v64, 0x3a52, v84
	v_add_f16_sdwa v84, v89, v89 dst_sel:DWORD dst_unused:UNUSED_PAD src0_sel:WORD_1 src1_sel:DWORD
	v_bfi_b32 v62, 0xffff, v73, v22
	v_pk_add_f16 v25, v25, v91 op_sel_hi:[1,0]
	v_pk_add_f16 v81, v60, v87 op_sel_hi:[1,0]
	v_alignbit_b32 v61, v22, v73, 16
	v_pack_b32_f16 v60, v82, v18
	v_add_f16_e32 v18, v64, v91
	v_fmac_f16_e32 v84, 0x370e, v74
	v_pk_add_f16 v22, v25, v81
	v_pk_add_f16 v25, v25, v81 neg_lo:[0,1] neg_hi:[0,1]
	ds_write_b96 v58, v[60:62]
	v_pk_add_f16 v15, v6, v109
	v_add_f16_e32 v60, v18, v84
	v_sub_f16_sdwa v78, v77, v80 dst_sel:DWORD dst_unused:UNUSED_PAD src0_sel:WORD_1 src1_sel:DWORD
	v_mad_i32_i24 v81, v12, 14, 0
	v_bfi_b32 v62, 0xffff, v22, v25
	v_alignbit_b32 v61, v25, v22, 16
	v_pack_b32_f16 v60, v83, v60
	v_pk_add_f16 v22, v110, v7 neg_lo:[0,1] neg_hi:[0,1]
	v_alignbit_b32 v25, v76, v15, 16
	ds_write_b16 v58, v63 offset:12
	v_perm_b32 v113, v17, v14, 0x5040100
	ds_write_b96 v81, v[60:62]
	v_add_f16_sdwa v60, v76, v15 dst_sel:DWORD dst_unused:UNUSED_PAD src0_sel:DWORD src1_sel:WORD_1
	v_add_f16_e32 v61, v78, v22
	v_sub_f16_e32 v62, v76, v15
	v_pk_add_f16 v25, v15, v25 neg_lo:[0,1] neg_hi:[0,1]
	v_pack_b32_f16 v63, v78, v22
	v_add_f16_e32 v15, v60, v15
	v_add_f16_sdwa v60, v22, v61 dst_sel:DWORD dst_unused:UNUSED_PAD src0_sel:WORD_1 src1_sel:DWORD
	v_mul_f16_e32 v61, 0xba52, v62
	v_pk_mul_f16 v64, 0x39e02b26, v25
	v_pk_add_f16 v63, v22, v63 neg_lo:[0,1] neg_hi:[0,1]
	v_sub_f16_sdwa v22, v78, v22 dst_sel:DWORD dst_unused:UNUSED_PAD src0_sel:DWORD src1_sel:WORD_1
	v_add_f16_e32 v73, v15, v1
	v_add_f16_e32 v65, v79, v24
	v_alignbit_b32 v61, v61, v64, 16
	v_fmamk_f16 v62, v62, 0x3a52, v64
	v_mul_f16_e32 v22, 0x3b00, v22
	v_fmamk_f16 v15, v15, 0xbcab, v73
	v_mul_f16_e32 v74, 0x370e, v60
	v_pk_fma_f16 v25, 0x39e02b26, v25, v61 neg_lo:[0,1,0] neg_hi:[0,1,0]
	v_perm_b32 v114, v24, v14, 0x7060302
	v_pk_fma_f16 v22, 0x3574b846, v63, v22 op_sel_hi:[1,1,0] neg_lo:[0,1,0] neg_hi:[0,1,1]
	v_add_f16_e32 v62, v62, v15
	v_sub_f16_sdwa v54, v17, v59 dst_sel:DWORD dst_unused:UNUSED_PAD src0_sel:WORD_1 src1_sel:DWORD
	v_pk_add_f16 v15, v25, v15 op_sel_hi:[1,0]
	v_pk_add_f16 v25, v2, v113
	v_pk_mul_f16 v76, 0x3574b846, v63
	v_pk_add_f16 v14, v22, v74 op_sel_hi:[1,0]
	v_pk_add_f16 v63, v114, v3 neg_lo:[0,1] neg_hi:[0,1]
	v_sub_f16_e32 v18, v18, v84
	v_alignbit_b32 v22, v65, v25, 16
	v_add_f16_sdwa v61, v76, v76 dst_sel:DWORD dst_unused:UNUSED_PAD src0_sel:WORD_1 src1_sel:DWORD
	v_add_f16_sdwa v74, v65, v25 dst_sel:DWORD dst_unused:UNUSED_PAD src0_sel:DWORD src1_sel:WORD_1
	v_sub_f16_e32 v65, v65, v25
	v_add_f16_e32 v76, v54, v63
	v_pk_add_f16 v22, v25, v22 neg_lo:[0,1] neg_hi:[0,1]
	v_pack_b32_f16 v78, v54, v63
	v_add_f16_e32 v25, v74, v25
	v_mul_f16_e32 v82, 0xba52, v65
	v_sub_f16_sdwa v54, v54, v63 dst_sel:DWORD dst_unused:UNUSED_PAD src0_sel:DWORD src1_sel:WORD_1
	v_pk_mul_f16 v74, 0x39e02b26, v22
	v_add_f16_sdwa v76, v63, v76 dst_sel:DWORD dst_unused:UNUSED_PAD src0_sel:WORD_1 src1_sel:DWORD
	v_pk_add_f16 v63, v63, v78 neg_lo:[0,1] neg_hi:[0,1]
	v_add_f16_e32 v78, v25, v0
	v_mul_f16_e32 v54, 0x3b00, v54
	v_alignbit_b32 v82, v82, v74, 16
	v_pk_add_f16 v64, v15, v14
	v_pk_mul_f16 v84, 0x3574b846, v63
	v_mul_f16_e32 v83, 0x370e, v76
	v_fmamk_f16 v25, v25, 0xbcab, v78
	v_pk_fma_f16 v22, 0x39e02b26, v22, v82 neg_lo:[0,1,0] neg_hi:[0,1,0]
	v_pk_fma_f16 v54, 0x3574b846, v63, v54 op_sel_hi:[1,1,0] neg_lo:[0,1,0] neg_hi:[0,1,1]
	v_pk_add_f16 v14, v15, v14 neg_lo:[0,1] neg_hi:[0,1]
	v_fmamk_f16 v15, v65, 0x3a52, v74
	v_add_f16_sdwa v74, v84, v84 dst_sel:DWORD dst_unused:UNUSED_PAD src0_sel:WORD_1 src1_sel:DWORD
	v_fmac_f16_e32 v61, 0x370e, v60
	v_pk_add_f16 v22, v22, v25 op_sel_hi:[1,0]
	v_pk_add_f16 v54, v54, v83 op_sel_hi:[1,0]
	v_add_f16_e32 v15, v15, v25
	v_fmac_f16_e32 v74, 0x370e, v76
	v_add_f16_e32 v60, v62, v61
	v_sub_f16_e32 v82, v62, v61
	v_bfi_b32 v62, 0xffff, v64, v14
	v_pk_add_f16 v25, v22, v54
	v_pk_add_f16 v119, v22, v54 neg_lo:[0,1] neg_hi:[0,1]
	v_alignbit_b32 v61, v14, v64, 16
	v_add_f16_e32 v14, v15, v74
	v_mad_i32_i24 v96, v13, 14, 0
	v_pack_b32_f16 v60, v73, v60
	v_mad_i32_i24 v54, v50, -12, v19
	v_mad_i32_i24 v22, v8, 14, 0
	v_bfi_b32 v65, 0xffff, v25, v119
	v_alignbit_b32 v64, v119, v25, 16
	v_pack_b32_f16 v63, v78, v14
	v_sub_f16_e32 v14, v15, v74
	ds_write_b16 v81, v18 offset:12
	ds_write_b96 v96, v[60:62]
	ds_write_b16 v96, v82 offset:12
	ds_write_b96 v22, v[63:65]
	ds_write_b16 v22, v14 offset:12
	v_mad_i32_i24 v22, v12, -12, v81
	s_waitcnt lgkmcnt(0)
	s_barrier
	buffer_gl0_inv
	v_mad_i32_i24 v25, v53, -12, v58
	ds_read_u16 v118, v54
	ds_read_u16 v94, v54 offset:350
	ds_read_u16 v73, v54 offset:460
	;; [unrolled: 1-line block ×11, first 2 shown]
	ds_read_u16 v91, v22
	ds_read_u16 v98, v54 offset:1050
	ds_read_u16 v82, v54 offset:920
	;; [unrolled: 1-line block ×14, first 2 shown]
	ds_read_u16 v120, v25
	ds_read_u16 v63, v54 offset:3720
	ds_read_u16 v112, v54 offset:3500
	;; [unrolled: 1-line block ×5, first 2 shown]
	v_mul_i32_i24_e32 v117, 14, v8
	v_mul_i32_i24_e32 v116, -12, v53
	v_mul_i32_i24_e32 v115, -12, v12
	v_cmp_gt_u32_e64 s0, 10, v50
	v_lshrrev_b32_e32 v25, 16, v119
                                        ; implicit-def: $vgpr137
                                        ; implicit-def: $vgpr138
                                        ; implicit-def: $vgpr139
                                        ; implicit-def: $vgpr140
                                        ; implicit-def: $vgpr135
                                        ; implicit-def: $vgpr136
                                        ; implicit-def: $vgpr141
                                        ; implicit-def: $vgpr142
                                        ; implicit-def: $vgpr143
	s_and_saveexec_b32 s1, s0
	s_cbranch_execz .LBB0_15
; %bb.14:
	v_mad_i32_i24 v25, v13, -12, v96
	ds_read_u16 v14, v54 offset:680
	ds_read_u16 v137, v54 offset:1030
	;; [unrolled: 1-line block ×9, first 2 shown]
	ds_read_u16 v25, v25
	ds_read_u16 v135, v54 offset:3830
.LBB0_15:
	s_or_b32 exec_lo, exec_lo, s1
	v_sub_f16_e32 v9, v9, v68
	v_add_f16_sdwa v55, v85, v55 dst_sel:DWORD dst_unused:UNUSED_PAD src0_sel:DWORD src1_sel:WORD_1
	v_pk_add_f16 v68, v93, v99
	v_sub_f16_e32 v23, v23, v66
	v_sub_f16_e32 v66, v70, v71
	;; [unrolled: 1-line block ×3, first 2 shown]
	v_pk_add_f16 v71, v97, v90 neg_lo:[0,1] neg_hi:[0,1]
	v_add_f16_sdwa v75, v68, v55 dst_sel:DWORD dst_unused:UNUSED_PAD src0_sel:WORD_1 src1_sel:DWORD
	v_add_f16_sdwa v70, v80, v77 dst_sel:DWORD dst_unused:UNUSED_PAD src0_sel:DWORD src1_sel:WORD_1
	v_sub_f16_e32 v24, v24, v79
	v_sub_f16_sdwa v77, v55, v68 dst_sel:DWORD dst_unused:UNUSED_PAD src0_sel:DWORD src1_sel:WORD_1
	v_sub_f16_sdwa v79, v68, v68 dst_sel:DWORD dst_unused:UNUSED_PAD src0_sel:WORD_1 src1_sel:DWORD
	v_sub_f16_e32 v55, v68, v55
	v_add_f16_sdwa v80, v71, v71 dst_sel:DWORD dst_unused:UNUSED_PAD src0_sel:WORD_1 src1_sel:DWORD
	v_add_f16_e32 v68, v75, v68
	v_sub_f16_sdwa v75, v71, v71 dst_sel:DWORD dst_unused:UNUSED_PAD src0_sel:DWORD src1_sel:WORD_1
	v_sub_f16_e32 v85, v9, v71
	v_sub_f16_sdwa v71, v71, v9 dst_sel:DWORD dst_unused:UNUSED_PAD src0_sel:WORD_1 src1_sel:DWORD
	v_add_f16_sdwa v56, v86, v56 dst_sel:DWORD dst_unused:UNUSED_PAD src0_sel:DWORD src1_sel:WORD_1
	v_add_f16_e32 v9, v9, v80
	v_add_f16_sdwa v10, v68, v10 dst_sel:DWORD dst_unused:UNUSED_PAD src0_sel:DWORD src1_sel:WORD_1
	v_mul_f16_e32 v55, 0x2b26, v55
	v_mul_f16_e32 v80, 0x3a52, v79
	v_mul_f16_e32 v75, 0xb846, v75
	v_mul_f16_e32 v86, 0x3b00, v71
	v_fmamk_f16 v68, v68, 0xbcab, v10
	v_fmamk_f16 v79, v79, 0x3a52, v55
	v_fma_f16 v55, v77, 0x39e0, -v55
	v_fma_f16 v77, v77, 0xb9e0, -v80
	v_fmamk_f16 v80, v85, 0x3574, v75
	v_fma_f16 v85, v85, 0xb574, -v86
	v_fma_f16 v71, v71, 0x3b00, -v75
	v_add_f16_e32 v75, v79, v68
	v_add_f16_e32 v77, v77, v68
	;; [unrolled: 1-line block ×3, first 2 shown]
	v_fmac_f16_e32 v85, 0x370e, v9
	v_fmac_f16_e32 v71, 0x370e, v9
	v_pk_add_f16 v68, v72, v102
	v_fmac_f16_e32 v80, 0x370e, v9
	v_add_f16_sdwa v9, v59, v17 dst_sel:DWORD dst_unused:UNUSED_PAD src0_sel:DWORD src1_sel:WORD_1
	v_sub_f16_e32 v59, v77, v85
	v_add_f16_e32 v72, v71, v55
	v_sub_f16_e32 v55, v55, v71
	v_add_f16_e32 v71, v85, v77
	v_pk_add_f16 v69, v100, v69 neg_lo:[0,1] neg_hi:[0,1]
	v_add_f16_sdwa v77, v68, v56 dst_sel:DWORD dst_unused:UNUSED_PAD src0_sel:WORD_1 src1_sel:DWORD
	v_sub_f16_sdwa v79, v56, v68 dst_sel:DWORD dst_unused:UNUSED_PAD src0_sel:DWORD src1_sel:WORD_1
	v_sub_f16_sdwa v85, v68, v68 dst_sel:DWORD dst_unused:UNUSED_PAD src0_sel:WORD_1 src1_sel:DWORD
	v_sub_f16_e32 v56, v68, v56
	v_add_f16_sdwa v86, v69, v69 dst_sel:DWORD dst_unused:UNUSED_PAD src0_sel:WORD_1 src1_sel:DWORD
	v_add_f16_e32 v68, v77, v68
	v_sub_f16_sdwa v77, v69, v69 dst_sel:DWORD dst_unused:UNUSED_PAD src0_sel:DWORD src1_sel:WORD_1
	v_add_f16_sdwa v57, v88, v57 dst_sel:DWORD dst_unused:UNUSED_PAD src0_sel:DWORD src1_sel:WORD_1
	v_sub_f16_e32 v88, v23, v69
	v_sub_f16_sdwa v69, v69, v23 dst_sel:DWORD dst_unused:UNUSED_PAD src0_sel:WORD_1 src1_sel:DWORD
	v_add_f16_e32 v23, v23, v86
	v_add_f16_sdwa v86, v68, v5 dst_sel:DWORD dst_unused:UNUSED_PAD src0_sel:DWORD src1_sel:WORD_1
	v_mul_f16_e32 v5, 0x2b26, v56
	v_mul_f16_e32 v77, 0xb846, v77
	;; [unrolled: 1-line block ×4, first 2 shown]
	v_fmamk_f16 v68, v68, 0xbcab, v86
	v_fmamk_f16 v85, v85, 0x3a52, v5
	v_fma_f16 v5, v79, 0x39e0, -v5
	v_fma_f16 v69, v69, 0x3b00, -v77
	;; [unrolled: 1-line block ×3, first 2 shown]
	v_fmamk_f16 v79, v88, 0x3574, v77
	v_fma_f16 v88, v88, 0xb574, -v90
	v_add_f16_e32 v5, v5, v68
	v_fmac_f16_e32 v69, 0x370e, v23
	v_pk_add_f16 v16, v16, v106
	v_sub_f16_e32 v17, v75, v80
	v_add_f16_e32 v56, v56, v68
	v_fmac_f16_e32 v79, 0x370e, v23
	v_fmac_f16_e32 v88, 0x370e, v23
	v_add_f16_e32 v23, v80, v75
	v_add_f16_e32 v80, v69, v5
	v_sub_f16_e32 v5, v5, v69
	v_pk_add_f16 v11, v105, v11 neg_lo:[0,1] neg_hi:[0,1]
	v_add_f16_sdwa v69, v16, v57 dst_sel:DWORD dst_unused:UNUSED_PAD src0_sel:WORD_1 src1_sel:DWORD
	v_add_f16_e32 v77, v85, v68
	v_sub_f16_e32 v75, v56, v88
	v_add_f16_e32 v56, v88, v56
	v_sub_f16_sdwa v85, v57, v16 dst_sel:DWORD dst_unused:UNUSED_PAD src0_sel:DWORD src1_sel:WORD_1
	v_sub_f16_sdwa v88, v16, v16 dst_sel:DWORD dst_unused:UNUSED_PAD src0_sel:WORD_1 src1_sel:DWORD
	v_sub_f16_e32 v57, v16, v57
	v_add_f16_sdwa v90, v11, v11 dst_sel:DWORD dst_unused:UNUSED_PAD src0_sel:WORD_1 src1_sel:DWORD
	v_add_f16_e32 v16, v69, v16
	v_sub_f16_sdwa v69, v11, v11 dst_sel:DWORD dst_unused:UNUSED_PAD src0_sel:DWORD src1_sel:WORD_1
	v_sub_f16_e32 v93, v66, v11
	v_sub_f16_sdwa v11, v11, v66 dst_sel:DWORD dst_unused:UNUSED_PAD src0_sel:WORD_1 src1_sel:DWORD
	v_add_f16_e32 v66, v66, v90
	v_add_f16_sdwa v90, v16, v4 dst_sel:DWORD dst_unused:UNUSED_PAD src0_sel:DWORD src1_sel:WORD_1
	v_mul_f16_e32 v4, 0x2b26, v57
	v_mul_f16_e32 v69, 0xb846, v69
	;; [unrolled: 1-line block ×4, first 2 shown]
	v_fmamk_f16 v16, v16, 0xbcab, v90
	v_fmamk_f16 v88, v88, 0x3a52, v4
	v_fma_f16 v4, v85, 0x39e0, -v4
	v_fma_f16 v11, v11, 0x3b00, -v69
	;; [unrolled: 1-line block ×3, first 2 shown]
	v_fmamk_f16 v85, v93, 0x3574, v69
	v_fma_f16 v93, v93, 0xb574, -v97
	v_add_f16_e32 v4, v4, v16
	v_fmac_f16_e32 v11, 0x370e, v66
	v_pk_add_f16 v7, v7, v110
	v_sub_f16_e32 v68, v77, v79
	v_add_f16_e32 v69, v88, v16
	v_add_f16_e32 v57, v57, v16
	v_fmac_f16_e32 v93, 0x370e, v66
	v_add_f16_e32 v16, v79, v77
	v_add_f16_e32 v79, v11, v4
	v_sub_f16_e32 v11, v4, v11
	v_pk_add_f16 v4, v109, v6 neg_lo:[0,1] neg_hi:[0,1]
	v_add_f16_sdwa v6, v7, v70 dst_sel:DWORD dst_unused:UNUSED_PAD src0_sel:WORD_1 src1_sel:DWORD
	v_sub_f16_e32 v77, v57, v93
	v_add_f16_e32 v57, v93, v57
	v_sub_f16_sdwa v88, v70, v7 dst_sel:DWORD dst_unused:UNUSED_PAD src0_sel:DWORD src1_sel:WORD_1
	v_sub_f16_sdwa v93, v7, v7 dst_sel:DWORD dst_unused:UNUSED_PAD src0_sel:WORD_1 src1_sel:DWORD
	v_sub_f16_e32 v70, v7, v70
	v_add_f16_sdwa v97, v4, v4 dst_sel:DWORD dst_unused:UNUSED_PAD src0_sel:WORD_1 src1_sel:DWORD
	v_add_f16_e32 v6, v6, v7
	v_sub_f16_sdwa v7, v4, v4 dst_sel:DWORD dst_unused:UNUSED_PAD src0_sel:DWORD src1_sel:WORD_1
	v_sub_f16_e32 v99, v67, v4
	v_sub_f16_sdwa v4, v4, v67 dst_sel:DWORD dst_unused:UNUSED_PAD src0_sel:WORD_1 src1_sel:DWORD
	v_add_f16_e32 v67, v67, v97
	v_add_f16_sdwa v97, v6, v1 dst_sel:DWORD dst_unused:UNUSED_PAD src0_sel:DWORD src1_sel:WORD_1
	v_mul_f16_e32 v1, 0x2b26, v70
	v_mul_f16_e32 v7, 0xb846, v7
	;; [unrolled: 1-line block ×4, first 2 shown]
	v_fmamk_f16 v6, v6, 0xbcab, v97
	v_fmamk_f16 v93, v93, 0x3a52, v1
	v_fma_f16 v1, v88, 0x39e0, -v1
	v_fma_f16 v4, v4, 0x3b00, -v7
	v_fmac_f16_e32 v85, 0x370e, v66
	v_fma_f16 v70, v88, 0xb9e0, -v70
	v_fmamk_f16 v88, v99, 0x3574, v7
	v_fma_f16 v7, v99, 0xb574, -v100
	v_add_f16_e32 v1, v1, v6
	v_fmac_f16_e32 v4, 0x370e, v67
	v_pk_add_f16 v3, v3, v114
	v_sub_f16_e32 v66, v69, v85
	v_fmac_f16_e32 v88, 0x370e, v67
	v_fmac_f16_e32 v7, 0x370e, v67
	v_add_f16_e32 v67, v85, v69
	v_add_f16_e32 v85, v4, v1
	v_sub_f16_e32 v99, v1, v4
	v_pk_add_f16 v1, v113, v2 neg_lo:[0,1] neg_hi:[0,1]
	v_add_f16_sdwa v2, v3, v9 dst_sel:DWORD dst_unused:UNUSED_PAD src0_sel:WORD_1 src1_sel:DWORD
	v_sub_f16_sdwa v4, v9, v3 dst_sel:DWORD dst_unused:UNUSED_PAD src0_sel:DWORD src1_sel:WORD_1
	v_sub_f16_sdwa v100, v3, v3 dst_sel:DWORD dst_unused:UNUSED_PAD src0_sel:WORD_1 src1_sel:DWORD
	v_sub_f16_e32 v9, v3, v9
	v_add_f16_sdwa v102, v1, v1 dst_sel:DWORD dst_unused:UNUSED_PAD src0_sel:WORD_1 src1_sel:DWORD
	v_add_f16_e32 v2, v2, v3
	v_sub_f16_sdwa v3, v1, v1 dst_sel:DWORD dst_unused:UNUSED_PAD src0_sel:DWORD src1_sel:WORD_1
	v_sub_f16_e32 v105, v24, v1
	v_sub_f16_sdwa v1, v1, v24 dst_sel:DWORD dst_unused:UNUSED_PAD src0_sel:WORD_1 src1_sel:DWORD
	v_add_f16_e32 v24, v24, v102
	v_add_f16_sdwa v102, v2, v0 dst_sel:DWORD dst_unused:UNUSED_PAD src0_sel:DWORD src1_sel:WORD_1
	v_mul_f16_e32 v0, 0x2b26, v9
	v_mul_f16_e32 v9, 0x3a52, v100
	;; [unrolled: 1-line block ×4, first 2 shown]
	v_fmamk_f16 v2, v2, 0xbcab, v102
	v_fmamk_f16 v100, v100, 0x3a52, v0
	v_fma_f16 v0, v4, 0x39e0, -v0
	v_fma_f16 v4, v4, 0xb9e0, -v9
	v_fmamk_f16 v9, v105, 0x3574, v3
	v_fma_f16 v1, v1, 0x3b00, -v3
	v_fma_f16 v3, v105, 0xb574, -v106
	v_add_f16_e32 v93, v93, v6
	v_add_f16_e32 v100, v100, v2
	;; [unrolled: 1-line block ×4, first 2 shown]
	v_fmac_f16_e32 v3, 0x370e, v24
	v_fmac_f16_e32 v1, 0x370e, v24
	v_add_f16_e32 v6, v70, v6
	v_fmac_f16_e32 v9, 0x370e, v24
	v_sub_f16_e32 v69, v93, v88
	v_add_f16_e32 v24, v88, v93
	v_sub_f16_e32 v93, v2, v3
	v_add_f16_e32 v105, v1, v0
	;; [unrolled: 2-line block ×3, first 2 shown]
	v_pack_b32_f16 v3, v55, v71
	v_pack_b32_f16 v2, v59, v72
	v_pack_b32_f16 v1, v10, v17
	v_sub_f16_e32 v70, v6, v7
	v_add_f16_e32 v7, v7, v6
	v_pack_b32_f16 v6, v5, v56
	v_pack_b32_f16 v5, v75, v80
	;; [unrolled: 1-line block ×3, first 2 shown]
	v_sub_f16_e32 v88, v100, v9
	s_waitcnt lgkmcnt(0)
	s_barrier
	buffer_gl0_inv
	ds_write_b96 v19, v[1:3]
	ds_write_b16 v19, v23 offset:12
	ds_write_b96 v58, v[4:6]
	ds_write_b16 v58, v16 offset:12
	v_pack_b32_f16 v3, v11, v57
	v_pack_b32_f16 v2, v77, v79
	;; [unrolled: 1-line block ×6, first 2 shown]
	v_add_f16_e32 v144, v9, v100
	v_add_nc_u32_e32 v7, 0, v117
	v_pack_b32_f16 v11, v106, v0
	v_pack_b32_f16 v10, v93, v105
	;; [unrolled: 1-line block ×3, first 2 shown]
	v_add_nc_u32_e32 v56, v81, v115
	ds_write_b96 v81, v[1:3]
	ds_write_b16 v81, v67 offset:12
	ds_write_b96 v96, v[4:6]
	ds_write_b16 v96, v24 offset:12
	;; [unrolled: 2-line block ×3, first 2 shown]
	s_waitcnt lgkmcnt(0)
	s_barrier
	buffer_gl0_inv
	v_add_nc_u32_e32 v55, v58, v116
	ds_read_u16 v71, v54
	ds_read_u16 v116, v54 offset:350
	ds_read_u16 v155, v54 offset:460
	ds_read_u16 v152, v54 offset:810
	ds_read_u16 v151, v54 offset:1160
	ds_read_u16 v150, v54 offset:1510
	ds_read_u16 v122, v54 offset:2100
	ds_read_u16 v131, v54 offset:2210
	ds_read_u16 v156, v54 offset:2560
	ds_read_u16 v153, v54 offset:2910
	ds_read_u16 v146, v54 offset:3260
	ds_read_u16 v145, v54 offset:3610
	ds_read_u16 v5, v56
	ds_read_u16 v117, v54 offset:1050
	ds_read_u16 v159, v54 offset:920
	;; [unrolled: 1-line block ×14, first 2 shown]
	ds_read_u16 v58, v55
	ds_read_u16 v149, v54 offset:3720
	ds_read_u16 v172, v54 offset:3500
	;; [unrolled: 1-line block ×5, first 2 shown]
	v_lshl_add_u32 v57, v13, 1, 0
                                        ; implicit-def: $vgpr161
                                        ; implicit-def: $vgpr162
                                        ; implicit-def: $vgpr163
                                        ; implicit-def: $vgpr164
                                        ; implicit-def: $vgpr154
                                        ; implicit-def: $vgpr160
                                        ; implicit-def: $vgpr165
                                        ; implicit-def: $vgpr169
                                        ; implicit-def: $vgpr170
	s_and_saveexec_b32 s1, s0
	s_cbranch_execz .LBB0_17
; %bb.16:
	ds_read_u16 v144, v54 offset:680
	ds_read_u16 v161, v54 offset:1030
	;; [unrolled: 1-line block ×9, first 2 shown]
	ds_read_u16 v0, v57
	ds_read_u16 v154, v54 offset:3830
.LBB0_17:
	s_or_b32 exec_lo, exec_lo, s1
	v_and_b32_e32 v1, 0xff, v50
	v_and_b32_e32 v3, 0xff, v53
	v_mov_b32_e32 v6, 10
	v_mul_lo_u16 v1, v1, 37
	v_mul_lo_u16 v3, v3, 37
	v_lshrrev_b16 v1, 8, v1
	v_lshrrev_b16 v3, 8, v3
	v_sub_nc_u16 v2, v50, v1
	v_lshrrev_b16 v2, 1, v2
	v_and_b32_e32 v2, 0x7f, v2
	v_add_nc_u16 v1, v2, v1
	v_sub_nc_u16 v2, v53, v3
	v_lshrrev_b16 v125, 2, v1
	v_and_b32_e32 v1, 0xff, v12
	v_lshrrev_b16 v2, 1, v2
	v_mul_lo_u16 v4, v125, 7
	v_mul_lo_u16 v7, v1, 37
	v_and_b32_e32 v2, 0x7f, v2
	v_sub_nc_u16 v129, v50, v4
	v_lshrrev_b16 v4, 8, v7
	v_add_nc_u16 v2, v2, v3
	v_mul_u32_u24_sdwa v3, v129, v6 dst_sel:DWORD dst_unused:UNUSED_PAD src0_sel:BYTE_0 src1_sel:DWORD
	v_sub_nc_u16 v7, v12, v4
	v_lshrrev_b16 v127, 2, v2
	v_and_b32_e32 v2, 0xff, v13
	v_lshlrev_b32_e32 v3, 2, v3
	v_lshrrev_b16 v7, 1, v7
	v_mul_lo_u16 v9, v127, 7
	v_mul_lo_u16 v10, v2, 37
	s_clause 0x1
	global_load_dwordx4 v[178:181], v3, s[8:9]
	global_load_dwordx4 v[182:185], v3, s[8:9] offset:16
	v_and_b32_e32 v7, 0x7f, v7
	v_sub_nc_u16 v133, v53, v9
	v_lshrrev_b16 v9, 8, v10
	global_load_dwordx2 v[210:211], v3, s[8:9] offset:32
	v_add_nc_u16 v4, v7, v4
	v_mul_u32_u24_sdwa v7, v133, v6 dst_sel:DWORD dst_unused:UNUSED_PAD src0_sel:BYTE_0 src1_sel:DWORD
	v_sub_nc_u16 v10, v13, v9
	v_lshrrev_b16 v132, 2, v4
	v_lshlrev_b32_e32 v4, 2, v7
	v_mul_lo_u16 v7, v132, 7
	global_load_dwordx4 v[186:189], v4, s[8:9]
	v_lshrrev_b16 v3, 1, v10
	s_clause 0x1
	global_load_dwordx4 v[190:193], v4, s[8:9] offset:16
	global_load_dwordx2 v[212:213], v4, s[8:9] offset:32
	v_sub_nc_u16 v134, v12, v7
	v_and_b32_e32 v3, 0x7f, v3
	v_mul_u32_u24_sdwa v7, v134, v6 dst_sel:DWORD dst_unused:UNUSED_PAD src0_sel:BYTE_0 src1_sel:DWORD
	v_add_nc_u16 v3, v3, v9
	v_lshlrev_b32_e32 v7, 2, v7
	v_lshrrev_b16 v3, 2, v3
	s_clause 0x1
	global_load_dwordx4 v[194:197], v7, s[8:9]
	global_load_dwordx4 v[198:201], v7, s[8:9] offset:16
	v_mul_lo_u16 v4, v3, 7
	v_sub_nc_u16 v4, v13, v4
	v_mul_u32_u24_sdwa v6, v4, v6 dst_sel:DWORD dst_unused:UNUSED_PAD src0_sel:BYTE_0 src1_sel:DWORD
	v_lshlrev_b32_e32 v6, 2, v6
	s_clause 0x3
	global_load_dwordx2 v[214:215], v7, s[8:9] offset:32
	global_load_dwordx4 v[202:205], v6, s[8:9]
	global_load_dwordx4 v[206:209], v6, s[8:9] offset:16
	global_load_dwordx2 v[216:217], v6, s[8:9] offset:32
	s_waitcnt vmcnt(0) lgkmcnt(0)
	s_barrier
	buffer_gl0_inv
	v_mul_f16_sdwa v123, v116, v178 dst_sel:DWORD dst_unused:UNUSED_PAD src0_sel:DWORD src1_sel:WORD_1
	v_mul_f16_sdwa v119, v94, v178 dst_sel:DWORD dst_unused:UNUSED_PAD src0_sel:DWORD src1_sel:WORD_1
	;; [unrolled: 1-line block ×34, first 2 shown]
	v_fma_f16 v128, v94, v178, -v123
	v_fmac_f16_e32 v119, v116, v178
	v_fmac_f16_e32 v115, v121, v179
	v_mul_f16_sdwa v236, v167, v194 dst_sel:DWORD dst_unused:UNUSED_PAD src0_sel:DWORD src1_sel:WORD_1
	v_mul_f16_sdwa v237, v159, v195 dst_sel:DWORD dst_unused:UNUSED_PAD src0_sel:DWORD src1_sel:WORD_1
	;; [unrolled: 1-line block ×6, first 2 shown]
	v_fmac_f16_e32 v109, v117, v180
	v_fma_f16 v121, v111, v181, -v219
	v_fmac_f16_e32 v105, v177, v181
	v_fmac_f16_e32 v100, v124, v182
	;; [unrolled: 1-line block ×5, first 2 shown]
	v_fma_f16 v111, v73, v186, -v226
	v_fmac_f16_e32 v97, v155, v186
	v_fmac_f16_e32 v93, v152, v187
	;; [unrolled: 1-line block ×4, first 2 shown]
	v_mul_f16_sdwa v245, v149, v215 dst_sel:DWORD dst_unused:UNUSED_PAD src0_sel:DWORD src1_sel:WORD_1
	v_mul_f16_sdwa v81, v63, v215 dst_sel:DWORD dst_unused:UNUSED_PAD src0_sel:DWORD src1_sel:WORD_1
	;; [unrolled: 1-line block ×8, first 2 shown]
	v_fmac_f16_e32 v96, v146, v212
	v_fmac_f16_e32 v99, v145, v213
	v_mul_f16_sdwa v88, v64, v188 dst_sel:DWORD dst_unused:UNUSED_PAD src0_sel:DWORD src1_sel:WORD_1
	v_mul_f16_sdwa v229, v150, v189 dst_sel:DWORD dst_unused:UNUSED_PAD src0_sel:DWORD src1_sel:WORD_1
	;; [unrolled: 1-line block ×30, first 2 shown]
	v_fma_f16 v126, v103, v179, -v126
	v_fma_f16 v123, v98, v180, -v218
	;; [unrolled: 1-line block ×8, first 2 shown]
	v_fmac_f16_e32 v85, v150, v189
	v_fma_f16 v94, v95, v190, -v230
	v_fma_f16 v95, v60, v191, -v231
	v_fmac_f16_e32 v80, v131, v191
	v_fma_f16 v101, v76, v192, -v232
	v_fma_f16 v89, v84, v194, -v236
	;; [unrolled: 1-line block ×10, first 2 shown]
	v_fmac_f16_e32 v59, v147, v198
	v_fma_f16 v92, v63, v215, -v245
	v_fmac_f16_e32 v81, v149, v215
	v_fma_f16 v64, v14, v202, -v246
	v_fma_f16 v60, v138, v204, -v248
	;; [unrolled: 1-line block ×6, first 2 shown]
	v_sub_f16_e32 v136, v119, v113
	v_sub_f16_e32 v138, v115, v114
	;; [unrolled: 1-line block ×7, first 2 shown]
	v_add_f16_e32 v149, v118, v128
	v_add_f16_e32 v150, v120, v111
	v_mul_f16_sdwa v243, v166, v201 dst_sel:DWORD dst_unused:UNUSED_PAD src0_sel:DWORD src1_sel:WORD_1
	v_mul_f16_sdwa v244, v158, v214 dst_sel:DWORD dst_unused:UNUSED_PAD src0_sel:DWORD src1_sel:WORD_1
	v_fma_f16 v98, v61, v189, -v229
	v_fmac_f16_e32 v79, v173, v190
	v_fmac_f16_e32 v86, v156, v192
	v_fma_f16 v104, v74, v193, -v233
	v_fmac_f16_e32 v90, v153, v193
	v_fmac_f16_e32 v77, v167, v194
	;; [unrolled: 1-line block ×5, first 2 shown]
	v_fma_f16 v74, v78, v199, -v241
	v_fmac_f16_e32 v66, v157, v199
	v_fma_f16 v78, v62, v200, -v242
	v_fmac_f16_e32 v68, v148, v200
	v_fmac_f16_e32 v70, v166, v201
	v_fmac_f16_e32 v75, v158, v214
	v_fmac_f16_e32 v24, v144, v202
	v_fma_f16 v62, v137, v203, -v247
	v_fmac_f16_e32 v23, v161, v203
	v_fmac_f16_e32 v11, v162, v204
	v_fma_f16 v18, v139, v205, -v249
	v_fmac_f16_e32 v9, v163, v205
	v_fmac_f16_e32 v6, v164, v206
	;; [unrolled: 1-line block ×4, first 2 shown]
	v_fma_f16 v61, v141, v209, -v253
	v_fmac_f16_e32 v16, v165, v209
	v_fmac_f16_e32 v17, v160, v216
	v_fma_f16 v65, v135, v217, -v255
	v_fmac_f16_e32 v19, v154, v217
	v_add_f16_e32 v135, v128, v131
	v_add_f16_e32 v137, v126, v130
	;; [unrolled: 1-line block ×7, first 2 shown]
	v_mul_f16_e32 v153, 0xb853, v136
	v_mul_f16_e32 v154, 0xbb47, v136
	;; [unrolled: 1-line block ×35, first 2 shown]
	v_add_f16_e32 v149, v149, v126
	v_add_f16_e32 v150, v150, v107
	v_fmac_f16_e32 v88, v151, v188
	v_fma_f16 v83, v83, v201, -v243
	v_fma_f16 v183, v135, 0x3abb, -v153
	v_fmac_f16_e32 v153, 0x3abb, v135
	v_fma_f16 v184, v135, 0x36a6, -v154
	v_fmac_f16_e32 v154, 0x36a6, v135
	v_fma_f16 v185, v135, 0xb08e, -v155
	v_fmac_f16_e32 v155, 0xb08e, v135
	v_fma_f16 v186, v135, 0xb93d, -v156
	v_fmac_f16_e32 v156, 0xb93d, v135
	v_fma_f16 v187, v135, 0xbbad, -v136
	v_fmac_f16_e32 v136, 0xbbad, v135
	v_fma_f16 v135, v137, 0x36a6, -v157
	v_fmac_f16_e32 v157, 0x36a6, v137
	v_fma_f16 v188, v137, 0xb93d, -v158
	v_fmac_f16_e32 v158, 0xb93d, v137
	v_fma_f16 v189, v137, 0xbbad, -v159
	v_fmac_f16_e32 v159, 0xbbad, v137
	v_fma_f16 v190, v137, 0xb08e, -v160
	v_fmac_f16_e32 v160, 0xb08e, v137
	v_fma_f16 v191, v137, 0x3abb, -v138
	v_fmac_f16_e32 v138, 0x3abb, v137
	v_fma_f16 v137, v139, 0xb08e, -v161
	v_fmac_f16_e32 v161, 0xb08e, v139
	v_fma_f16 v192, v139, 0xbbad, -v162
	v_fmac_f16_e32 v162, 0xbbad, v139
	v_fma_f16 v193, v139, 0x36a6, -v163
	v_fmac_f16_e32 v163, 0x36a6, v139
	v_fma_f16 v194, v139, 0x3abb, -v164
	v_fmac_f16_e32 v164, 0x3abb, v139
	v_fma_f16 v195, v139, 0xb93d, -v140
	v_fmac_f16_e32 v140, 0xb93d, v139
	v_fma_f16 v139, v141, 0xb93d, -v165
	v_fmac_f16_e32 v165, 0xb93d, v141
	v_fma_f16 v196, v141, 0xb08e, -v166
	v_fmac_f16_e32 v166, 0xb08e, v141
	v_fma_f16 v197, v141, 0x3abb, -v167
	v_fmac_f16_e32 v167, 0x3abb, v141
	v_fma_f16 v198, v141, 0xbbad, -v168
	v_fmac_f16_e32 v168, 0xbbad, v141
	v_fma_f16 v199, v141, 0x36a6, -v142
	v_fmac_f16_e32 v142, 0x36a6, v141
	v_fma_f16 v141, v144, 0xbbad, -v169
	v_fmac_f16_e32 v169, 0xbbad, v144
	v_fma_f16 v200, v144, 0x3abb, -v170
	v_fmac_f16_e32 v170, 0x3abb, v144
	v_fma_f16 v201, v144, 0xb93d, -v171
	v_fmac_f16_e32 v171, 0xb93d, v144
	v_fma_f16 v202, v144, 0x36a6, -v172
	v_fmac_f16_e32 v172, 0x36a6, v144
	v_fma_f16 v203, v144, 0xb08e, -v143
	v_fmac_f16_e32 v143, 0xb08e, v144
	v_fma_f16 v144, v146, 0x3abb, -v173
	v_fmac_f16_e32 v173, 0x3abb, v146
	v_fma_f16 v204, v146, 0x36a6, -v174
	v_fmac_f16_e32 v174, 0x36a6, v146
	v_fma_f16 v205, v146, 0xb08e, -v175
	v_fmac_f16_e32 v175, 0xb08e, v146
	v_fma_f16 v206, v146, 0xb93d, -v176
	v_fmac_f16_e32 v176, 0xb93d, v146
	v_fma_f16 v207, v146, 0xbbad, -v145
	v_fmac_f16_e32 v145, 0xbbad, v146
	v_fma_f16 v146, v148, 0x36a6, -v177
	v_fmac_f16_e32 v177, 0x36a6, v148
	v_fma_f16 v208, v148, 0xb93d, -v178
	v_fmac_f16_e32 v178, 0xb93d, v148
	v_fma_f16 v209, v148, 0xbbad, -v179
	v_fmac_f16_e32 v179, 0xbbad, v148
	v_fma_f16 v210, v148, 0xb08e, -v180
	v_fmac_f16_e32 v180, 0xb08e, v148
	v_fma_f16 v211, v148, 0x3abb, -v147
	v_fmac_f16_e32 v147, 0x3abb, v148
	v_add_f16_e32 v148, v149, v123
	v_add_f16_e32 v149, v150, v103
	;; [unrolled: 1-line block ×27, first 2 shown]
	v_sub_f16_e32 v151, v88, v90
	v_add_f16_e32 v147, v148, v94
	v_add_f16_e32 v135, v137, v135
	;; [unrolled: 1-line block ×15, first 2 shown]
	v_mul_f16_e32 v181, 0xbbeb, v151
	v_add_f16_e32 v156, v160, v156
	v_add_f16_e32 v137, v161, v149
	;; [unrolled: 1-line block ×11, first 2 shown]
	v_mul_f16_e32 v182, 0x3482, v151
	v_fma_f16 v150, v152, 0xb08e, -v181
	v_add_f16_e32 v136, v146, v136
	v_add_f16_e32 v156, v164, v156
	;; [unrolled: 1-line block ×19, first 2 shown]
	v_mul_f16_e32 v135, 0x3b47, v151
	v_add_f16_e32 v136, v150, v136
	v_fma_f16 v150, v152, 0xbbad, -v182
	v_sub_f16_e32 v155, v85, v86
	v_fmac_f16_e32 v181, 0xb08e, v152
	v_add_f16_e32 v160, v209, v204
	v_add_f16_e32 v142, v200, v145
	;; [unrolled: 1-line block ×5, first 2 shown]
	v_fma_f16 v154, v152, 0x36a6, -v135
	v_add_f16_e32 v144, v150, v144
	v_mul_f16_e32 v150, 0xb853, v151
	v_mul_f16_e32 v151, 0xba0c, v151
	v_add_f16_e32 v157, v98, v101
	v_mul_f16_e32 v158, 0xba0c, v155
	v_fmac_f16_e32 v182, 0xbbad, v152
	v_add_f16_e32 v138, v181, v138
	v_fmac_f16_e32 v135, 0x36a6, v152
	v_add_f16_e32 v154, v154, v160
	v_fma_f16 v156, v152, 0x3abb, -v150
	v_fmac_f16_e32 v150, 0x3abb, v152
	v_fma_f16 v159, v152, 0xb93d, -v151
	v_fmac_f16_e32 v151, 0xb93d, v152
	;; [unrolled: 2-line block ×3, first 2 shown]
	v_mul_f16_e32 v160, 0x3beb, v155
	v_add_f16_e32 v146, v178, v174
	v_add_f16_e32 v173, v179, v175
	;; [unrolled: 1-line block ×5, first 2 shown]
	v_mul_f16_e32 v151, 0xb853, v155
	v_add_f16_e32 v138, v158, v138
	v_fma_f16 v152, v157, 0xb08e, -v160
	v_mul_f16_e32 v158, 0xb482, v155
	v_add_f16_e32 v135, v135, v173
	v_add_f16_e32 v156, v156, v174
	v_fma_f16 v161, v157, 0x3abb, -v151
	v_fmac_f16_e32 v151, 0x3abb, v157
	v_add_f16_e32 v144, v152, v144
	v_fma_f16 v152, v157, 0xbbad, -v158
	v_add_f16_e32 v175, v180, v176
	v_add_f16_e32 v176, v211, v206
	;; [unrolled: 1-line block ×3, first 2 shown]
	v_fmac_f16_e32 v160, 0xb08e, v157
	v_add_f16_e32 v135, v151, v135
	v_mul_f16_e32 v151, 0x3b47, v155
	v_add_f16_e32 v152, v152, v156
	v_sub_f16_e32 v155, v79, v80
	v_add_f16_e32 v156, v91, v89
	v_add_f16_e32 v150, v150, v175
	;; [unrolled: 1-line block ×5, first 2 shown]
	v_fmac_f16_e32 v158, 0xbbad, v157
	v_fma_f16 v160, v157, 0x36a6, -v151
	v_add_f16_e32 v161, v94, v95
	v_mul_f16_e32 v162, 0xb482, v155
	v_add_f16_e32 v156, v156, v84
	v_add_f16_e32 v150, v158, v150
	v_fmac_f16_e32 v151, 0x36a6, v157
	v_add_f16_e32 v157, v160, v159
	v_fma_f16 v158, v161, 0xbbad, -v162
	v_mul_f16_e32 v159, 0x3853, v155
	v_add_f16_e32 v156, v156, v82
	v_add_f16_e32 v120, v151, v120
	v_mul_f16_e32 v160, 0x3b47, v155
	v_add_f16_e32 v151, v158, v136
	v_fma_f16 v136, v161, 0x3abb, -v159
	v_add_f16_e32 v156, v156, v76
	v_mul_f16_e32 v158, 0xba0c, v155
	v_fma_f16 v87, v87, v214, -v244
	v_fmac_f16_e32 v159, 0x3abb, v161
	v_add_f16_e32 v144, v136, v144
	v_add_f16_e32 v136, v156, v73
	v_fma_f16 v156, v161, 0xb93d, -v158
	v_fmac_f16_e32 v158, 0xb93d, v161
	v_add_f16_e32 v137, v165, v137
	v_fmac_f16_e32 v162, 0xbbad, v161
	v_add_f16_e32 v136, v136, v74
	v_add_f16_e32 v154, v156, v154
	;; [unrolled: 1-line block ×3, first 2 shown]
	v_fma_f16 v156, v161, 0x36a6, -v160
	v_fmac_f16_e32 v160, 0x36a6, v161
	v_add_f16_e32 v135, v136, v78
	v_mul_f16_e32 v136, 0xbbeb, v155
	v_sub_f16_e32 v155, v77, v81
	v_add_f16_e32 v152, v156, v152
	v_add_f16_e32 v146, v159, v146
	;; [unrolled: 1-line block ×3, first 2 shown]
	v_fma_f16 v156, v161, 0xb08e, -v136
	v_fmac_f16_e32 v136, 0xb08e, v161
	v_add_f16_e32 v150, v160, v150
	v_add_f16_e32 v159, v89, v92
	;; [unrolled: 1-line block ×3, first 2 shown]
	v_mul_f16_e32 v160, 0xb853, v155
	v_add_f16_e32 v120, v136, v120
	v_mul_f16_e32 v136, 0xbb47, v155
	v_mul_f16_e32 v164, 0xba0c, v155
	v_add_f16_e32 v161, v135, v92
	v_mul_f16_e32 v135, 0xbbeb, v155
	v_mul_f16_e32 v155, 0xb482, v155
	v_sub_f16_e32 v165, v72, v75
	v_add_f16_e32 v137, v169, v137
	v_add_f16_e32 v138, v162, v138
	;; [unrolled: 1-line block ×3, first 2 shown]
	v_fma_f16 v157, v159, 0x3abb, -v160
	v_fmac_f16_e32 v160, 0x3abb, v159
	v_fma_f16 v162, v159, 0x36a6, -v136
	v_fmac_f16_e32 v136, 0x36a6, v159
	v_fma_f16 v163, v159, 0xb08e, -v135
	v_fmac_f16_e32 v135, 0xb08e, v159
	v_fma_f16 v166, v159, 0xb93d, -v164
	v_fmac_f16_e32 v164, 0xb93d, v159
	v_fma_f16 v167, v159, 0xbbad, -v155
	v_add_f16_e32 v168, v84, v87
	v_mul_f16_e32 v169, 0xbb47, v165
	v_fmac_f16_e32 v155, 0xbbad, v159
	v_add_f16_e32 v157, v91, v157
	v_add_f16_e32 v160, v91, v160
	;; [unrolled: 1-line block ×9, first 2 shown]
	v_fma_f16 v167, v168, 0x36a6, -v169
	v_mul_f16_e32 v170, 0xba0c, v165
	v_add_f16_e32 v91, v91, v155
	v_fmac_f16_e32 v169, 0x36a6, v168
	v_mul_f16_e32 v155, 0x3482, v165
	v_add_f16_e32 v157, v167, v157
	v_fma_f16 v167, v168, 0xb93d, -v170
	v_fmac_f16_e32 v170, 0xb93d, v168
	v_add_f16_e32 v160, v169, v160
	v_fma_f16 v169, v168, 0xbbad, -v155
	v_fmac_f16_e32 v155, 0xbbad, v168
	v_add_f16_e32 v162, v167, v162
	v_mul_f16_e32 v167, 0x3beb, v165
	v_mul_f16_e32 v165, 0x3853, v165
	v_add_f16_e32 v136, v170, v136
	v_add_f16_e32 v135, v155, v135
	v_sub_f16_e32 v155, v69, v70
	v_add_f16_e32 v163, v169, v163
	v_fma_f16 v169, v168, 0xb08e, -v167
	v_fmac_f16_e32 v167, 0xb08e, v168
	v_add_f16_e32 v170, v82, v83
	v_mul_f16_e32 v171, 0xbbeb, v155
	v_fma_f16 v172, v168, 0x3abb, -v165
	v_fmac_f16_e32 v165, 0x3abb, v168
	v_add_f16_e32 v159, v167, v159
	v_mul_f16_e32 v168, 0x3482, v155
	;; [unrolled: 4-line block ×3, first 2 shown]
	v_add_f16_e32 v166, v169, v166
	v_add_f16_e32 v157, v167, v157
	v_fma_f16 v167, v170, 0xbbad, -v168
	v_add_f16_e32 v160, v171, v160
	v_mul_f16_e32 v169, 0xb853, v155
	v_fma_f16 v171, v170, 0x36a6, -v165
	v_fmac_f16_e32 v165, 0x36a6, v170
	v_fmac_f16_e32 v168, 0xbbad, v170
	v_add_f16_e32 v162, v167, v162
	v_fma_f16 v167, v170, 0x3abb, -v169
	v_mul_f16_e32 v155, 0xba0c, v155
	v_add_f16_e32 v135, v165, v135
	v_sub_f16_e32 v165, v67, v68
	v_add_f16_e32 v164, v172, v164
	v_add_f16_e32 v136, v168, v136
	;; [unrolled: 1-line block ×4, first 2 shown]
	v_fmac_f16_e32 v169, 0x3abb, v170
	v_fma_f16 v167, v170, 0xb93d, -v155
	v_add_f16_e32 v168, v76, v78
	v_mul_f16_e32 v171, 0xba0c, v165
	v_fmac_f16_e32 v155, 0xb93d, v170
	v_add_f16_e32 v159, v169, v159
	v_add_f16_e32 v164, v167, v164
	v_mul_f16_e32 v167, 0x3beb, v165
	v_fma_f16 v169, v168, 0xb93d, -v171
	v_add_f16_e32 v91, v155, v91
	v_mul_f16_e32 v155, 0xb853, v165
	v_fmac_f16_e32 v171, 0xb93d, v168
	v_fma_f16 v170, v168, 0xb08e, -v167
	v_add_f16_e32 v157, v169, v157
	v_fmac_f16_e32 v167, 0xb08e, v168
	v_fma_f16 v169, v168, 0x3abb, -v155
	v_fmac_f16_e32 v155, 0x3abb, v168
	v_add_f16_e32 v160, v171, v160
	v_add_f16_e32 v162, v170, v162
	;; [unrolled: 1-line block ×3, first 2 shown]
	v_mul_f16_e32 v167, 0xb482, v165
	v_mul_f16_e32 v165, 0x3b47, v165
	v_add_f16_e32 v135, v155, v135
	v_sub_f16_e32 v155, v59, v66
	v_add_f16_e32 v163, v169, v163
	v_fma_f16 v169, v168, 0xbbad, -v167
	v_fmac_f16_e32 v167, 0xbbad, v168
	v_fma_f16 v170, v168, 0x36a6, -v165
	v_add_f16_e32 v171, v73, v74
	v_mul_f16_e32 v172, 0xb482, v155
	v_fmac_f16_e32 v165, 0x36a6, v168
	v_add_f16_e32 v159, v167, v159
	v_mul_f16_e32 v168, 0x3853, v155
	v_add_f16_e32 v166, v169, v166
	v_fma_f16 v167, v171, 0xbbad, -v172
	v_add_f16_e32 v165, v165, v91
	v_mul_f16_e32 v91, 0xba0c, v155
	v_add_f16_e32 v139, v139, v124
	v_add_f16_e32 v164, v170, v164
	;; [unrolled: 1-line block ×3, first 2 shown]
	v_fma_f16 v167, v171, 0x3abb, -v168
	v_fmac_f16_e32 v168, 0x3abb, v171
	v_fma_f16 v169, v171, 0xb93d, -v91
	v_fmac_f16_e32 v91, 0xb93d, v171
	v_add_f16_e32 v139, v139, v130
	v_add_f16_e32 v162, v167, v162
	;; [unrolled: 1-line block ×4, first 2 shown]
	v_mul_f16_e32 v168, 0x3b47, v155
	v_add_f16_e32 v169, v91, v135
	v_mov_b32_e32 v135, 0x9a
	v_mov_b32_e32 v136, 1
	v_add_f16_e32 v139, v139, v131
	v_fma_f16 v91, v171, 0x36a6, -v168
	v_mul_f16_e32 v155, 0xbbeb, v155
	v_mul_u32_u24_sdwa v125, v125, v135 dst_sel:DWORD dst_unused:UNUSED_PAD src0_sel:WORD_0 src1_sel:DWORD
	v_lshlrev_b32_sdwa v129, v136, v129 dst_sel:DWORD dst_unused:UNUSED_PAD src0_sel:DWORD src1_sel:BYTE_0
	v_mul_u32_u24_sdwa v127, v127, v135 dst_sel:DWORD dst_unused:UNUSED_PAD src0_sel:WORD_0 src1_sel:DWORD
	v_add_f16_e32 v166, v91, v166
	v_fmac_f16_e32 v172, 0xbbad, v171
	v_fmac_f16_e32 v168, 0x36a6, v171
	v_add3_u32 v91, 0, v125, v129
	v_lshlrev_b32_sdwa v129, v136, v133 dst_sel:DWORD dst_unused:UNUSED_PAD src0_sel:DWORD src1_sel:BYTE_0
	ds_write_b16 v91, v139
	ds_write_b16 v91, v141 offset:14
	ds_write_b16 v91, v142 offset:28
	;; [unrolled: 1-line block ×6, first 2 shown]
	v_add3_u32 v118, 0, v127, v129
	v_mul_u32_u24_sdwa v127, v132, v135 dst_sel:DWORD dst_unused:UNUSED_PAD src0_sel:WORD_0 src1_sel:DWORD
	v_lshlrev_b32_sdwa v129, v136, v134 dst_sel:DWORD dst_unused:UNUSED_PAD src0_sel:DWORD src1_sel:BYTE_0
	v_fma_f16 v170, v171, 0xb08e, -v155
	v_fmac_f16_e32 v155, 0xb08e, v171
	ds_write_b16 v91, v149 offset:98
	ds_write_b16 v91, v147 offset:112
	;; [unrolled: 1-line block ×4, first 2 shown]
	ds_write_b16 v118, v143
	ds_write_b16 v118, v151 offset:14
	ds_write_b16 v118, v144 offset:28
	ds_write_b16 v118, v154 offset:42
	ds_write_b16 v118, v152 offset:56
	ds_write_b16 v118, v156 offset:70
	ds_write_b16 v118, v120 offset:84
	v_add3_u32 v120, 0, v127, v129
	v_add_f16_e32 v160, v172, v160
	v_add_f16_e32 v159, v168, v159
	;; [unrolled: 1-line block ×4, first 2 shown]
	ds_write_b16 v118, v150 offset:98
	ds_write_b16 v118, v158 offset:112
	;; [unrolled: 1-line block ×4, first 2 shown]
	ds_write_b16 v120, v161
	ds_write_b16 v120, v157 offset:14
	ds_write_b16 v120, v162 offset:28
	;; [unrolled: 1-line block ×10, first 2 shown]
	s_and_saveexec_b32 s1, s0
	s_cbranch_execz .LBB0_19
; %bb.18:
	v_sub_f16_e32 v129, v24, v19
	v_add_f16_e32 v127, v64, v65
	v_sub_f16_e32 v133, v23, v17
	v_add_f16_e32 v132, v62, v63
	v_sub_f16_e32 v137, v11, v16
	v_mul_f16_e32 v142, 0xb482, v129
	v_add_f16_e32 v134, v60, v61
	v_mul_f16_e32 v143, 0x3853, v133
	v_sub_f16_e32 v139, v9, v10
	v_mul_f16_e32 v144, 0xba0c, v137
	v_fmamk_f16 v150, v127, 0xbbad, v142
	v_fma_f16 v142, v127, 0xbbad, -v142
	v_mul_f16_e32 v147, 0xba0c, v129
	v_fmamk_f16 v151, v132, 0x3abb, v143
	v_fma_f16 v143, v132, 0x3abb, -v143
	v_add_f16_e32 v150, v25, v150
	v_add_f16_e32 v142, v25, v142
	;; [unrolled: 1-line block ×3, first 2 shown]
	v_sub_f16_e32 v141, v6, v7
	v_mul_f16_e32 v145, 0x3b47, v139
	v_mul_f16_e32 v148, 0x3beb, v133
	v_fmamk_f16 v152, v134, 0xb93d, v144
	v_fma_f16 v144, v134, 0xb93d, -v144
	v_add_f16_e32 v150, v151, v150
	v_add_f16_e32 v142, v143, v142
	v_fmamk_f16 v143, v127, 0xb93d, v147
	v_add_f16_e32 v140, v14, v15
	v_mul_f16_e32 v146, 0xbbeb, v141
	v_mul_f16_e32 v149, 0xb853, v137
	v_fmamk_f16 v153, v138, 0x36a6, v145
	v_fma_f16 v145, v138, 0x36a6, -v145
	v_add_f16_e32 v150, v152, v150
	v_fmamk_f16 v151, v132, 0xb08e, v148
	v_add_f16_e32 v142, v144, v142
	v_add_f16_e32 v143, v25, v143
	v_fma_f16 v147, v127, 0xb93d, -v147
	v_add_f16_e32 v144, v153, v150
	v_fmamk_f16 v150, v140, 0xb08e, v146
	v_add_f16_e32 v142, v145, v142
	v_add_f16_e32 v143, v151, v143
	v_fmamk_f16 v145, v134, 0x3abb, v149
	v_mul_f16_e32 v151, 0xb482, v139
	v_fma_f16 v146, v140, 0xb08e, -v146
	v_add_f16_e32 v144, v150, v144
	v_add_f16_e32 v147, v25, v147
	v_add_f16_e32 v143, v145, v143
	v_fmamk_f16 v145, v138, 0xbbad, v151
	v_add_f16_e32 v142, v146, v142
	v_mul_f16_e32 v146, 0xbbeb, v129
	v_fma_f16 v148, v132, 0xb08e, -v148
	v_mul_f16_e32 v152, 0x3482, v133
	v_add_f16_e32 v143, v145, v143
	v_mul_f16_e32 v145, 0x3b47, v141
	v_fmamk_f16 v150, v127, 0xb08e, v146
	v_add_f16_e32 v147, v148, v147
	v_fma_f16 v148, v134, 0x3abb, -v149
	v_fmamk_f16 v153, v132, 0xbbad, v152
	v_fmamk_f16 v149, v140, 0x36a6, v145
	v_add_f16_e32 v150, v25, v150
	v_mul_f16_e32 v154, 0x3b47, v137
	v_add_f16_e32 v147, v148, v147
	v_fma_f16 v148, v138, 0xbbad, -v151
	v_add_f16_e32 v143, v149, v143
	v_add_f16_e32 v149, v153, v150
	v_fmamk_f16 v150, v134, 0x36a6, v154
	v_mul_f16_e32 v151, 0xb853, v139
	v_add_f16_e32 v147, v148, v147
	v_fma_f16 v145, v140, 0x36a6, -v145
	v_fma_f16 v146, v127, 0xb08e, -v146
	v_add_f16_e32 v148, v150, v149
	v_fmamk_f16 v149, v138, 0x3abb, v151
	v_mul_f16_e32 v150, 0xbb47, v129
	v_add_f16_e32 v125, v25, v64
	v_add_f16_e32 v145, v145, v147
	;; [unrolled: 1-line block ×3, first 2 shown]
	v_fma_f16 v147, v132, 0xbbad, -v152
	v_add_f16_e32 v148, v149, v148
	v_fmamk_f16 v149, v127, 0x36a6, v150
	v_mul_f16_e32 v152, 0xba0c, v133
	v_add_f16_e32 v125, v125, v62
	v_add_f16_e32 v146, v147, v146
	v_fma_f16 v147, v134, 0x36a6, -v154
	v_add_f16_e32 v149, v25, v149
	v_fmamk_f16 v154, v132, 0xb93d, v152
	v_mul_f16_e32 v155, 0x3482, v137
	v_add_f16_e32 v125, v125, v60
	v_mul_f16_e32 v153, 0xba0c, v141
	v_add_f16_e32 v146, v147, v146
	v_fma_f16 v147, v138, 0x3abb, -v151
	v_add_f16_e32 v149, v154, v149
	v_fmamk_f16 v151, v134, 0xbbad, v155
	v_mul_f16_e32 v154, 0x3beb, v139
	v_fma_f16 v150, v127, 0x36a6, -v150
	v_add_f16_e32 v125, v125, v18
	v_add_f16_e32 v146, v147, v146
	v_fma_f16 v147, v140, 0xb93d, -v153
	v_add_f16_e32 v149, v151, v149
	v_fmamk_f16 v151, v138, 0xb08e, v154
	v_add_f16_e32 v150, v25, v150
	v_fma_f16 v152, v132, 0xb93d, -v152
	v_mul_f16_e32 v129, 0xb853, v129
	v_add_f16_e32 v125, v125, v14
	v_add_f16_e32 v146, v147, v146
	v_add_f16_e32 v147, v151, v149
	v_add_f16_e32 v149, v152, v150
	v_fma_f16 v150, v134, 0xbbad, -v155
	v_fma_f16 v151, v127, 0x3abb, -v129
	v_mul_f16_e32 v133, 0xbb47, v133
	v_fmamk_f16 v127, v127, 0x3abb, v129
	v_add_f16_e32 v125, v125, v15
	v_add_f16_e32 v129, v150, v149
	;; [unrolled: 1-line block ×3, first 2 shown]
	v_fma_f16 v150, v132, 0x36a6, -v133
	v_mul_f16_e32 v137, 0xbbeb, v137
	v_add_f16_e32 v25, v25, v127
	v_fmamk_f16 v127, v132, 0x36a6, v133
	v_add_f16_e32 v125, v125, v22
	v_add_f16_e32 v133, v150, v149
	v_fma_f16 v149, v134, 0xb08e, -v137
	v_mul_f16_e32 v139, 0xba0c, v139
	v_add_f16_e32 v25, v127, v25
	v_fmamk_f16 v127, v134, 0xb08e, v137
	v_add_f16_e32 v125, v125, v61
	v_fma_f16 v132, v138, 0xb08e, -v154
	v_add_f16_e32 v133, v149, v133
	v_fma_f16 v137, v138, 0xb93d, -v139
	v_add_f16_e32 v25, v127, v25
	v_mul_f16_e32 v127, 0xb482, v141
	v_mul_f16_e32 v152, 0x3853, v141
	v_add_f16_e32 v125, v125, v63
	v_add_f16_e32 v129, v132, v129
	v_fmamk_f16 v132, v138, 0xb93d, v139
	v_mul_u32_u24_sdwa v135, v3, v135 dst_sel:DWORD dst_unused:UNUSED_PAD src0_sel:WORD_0 src1_sel:DWORD
	v_lshlrev_b32_sdwa v136, v136, v4 dst_sel:DWORD dst_unused:UNUSED_PAD src0_sel:DWORD src1_sel:BYTE_0
	v_add_f16_e32 v133, v137, v133
	v_fma_f16 v137, v140, 0xbbad, -v127
	v_fma_f16 v138, v140, 0x3abb, -v152
	v_add_f16_e32 v125, v125, v65
	v_fmamk_f16 v156, v140, 0xb93d, v153
	v_fmamk_f16 v134, v140, 0x3abb, v152
	v_add_f16_e32 v25, v132, v25
	v_fmamk_f16 v127, v140, 0xbbad, v127
	v_add3_u32 v132, 0, v135, v136
	v_add_f16_e32 v133, v137, v133
	v_add_f16_e32 v129, v138, v129
	;; [unrolled: 1-line block ×5, first 2 shown]
	ds_write_b16 v132, v125
	ds_write_b16 v132, v133 offset:14
	ds_write_b16 v132, v129 offset:28
	;; [unrolled: 1-line block ×10, first 2 shown]
.LBB0_19:
	s_or_b32 exec_lo, exec_lo, s1
	v_add_f16_e32 v25, v71, v119
	v_sub_f16_e32 v125, v128, v131
	v_add_f16_e32 v119, v119, v113
	v_sub_f16_e32 v126, v126, v130
	v_add_f16_e32 v127, v115, v114
	v_add_f16_e32 v25, v25, v115
	v_mul_f16_e32 v128, 0xbb47, v125
	v_mul_f16_e32 v129, 0xbbeb, v125
	;; [unrolled: 1-line block ×4, first 2 shown]
	v_add_f16_e32 v25, v25, v109
	v_fmamk_f16 v135, v119, 0x36a6, v128
	v_fma_f16 v128, v119, 0x36a6, -v128
	v_mul_f16_e32 v130, 0xba0c, v125
	v_mul_f16_e32 v125, 0xb482, v125
	v_add_f16_e32 v25, v25, v105
	v_mul_f16_e32 v133, 0x3482, v126
	v_fmamk_f16 v136, v119, 0xb08e, v129
	v_fma_f16 v129, v119, 0xb08e, -v129
	v_add_f16_e32 v128, v71, v128
	v_add_f16_e32 v25, v25, v100
	v_mul_f16_e32 v131, 0xbb47, v126
	v_fmamk_f16 v134, v119, 0x3abb, v115
	v_fmamk_f16 v137, v119, 0xb93d, v130
	v_fma_f16 v130, v119, 0xb93d, -v130
	v_add_f16_e32 v25, v25, v102
	v_fmamk_f16 v138, v119, 0xbbad, v125
	v_fmamk_f16 v139, v127, 0xb93d, v132
	v_add_f16_e32 v129, v71, v129
	v_sub_f16_e32 v123, v123, v124
	v_add_f16_e32 v25, v25, v106
	v_fma_f16 v115, v119, 0x3abb, -v115
	v_fma_f16 v119, v119, 0xbbad, -v125
	v_fmamk_f16 v125, v127, 0x36a6, v131
	v_add_f16_e32 v134, v71, v134
	v_add_f16_e32 v25, v25, v110
	;; [unrolled: 1-line block ×3, first 2 shown]
	v_mul_f16_e32 v110, 0xbbeb, v123
	v_fma_f16 v131, v127, 0x36a6, -v131
	v_add_f16_e32 v115, v71, v115
	v_add_f16_e32 v25, v25, v114
	;; [unrolled: 1-line block ×7, first 2 shown]
	v_fma_f16 v113, v127, 0xb93d, -v132
	v_fma_f16 v132, v127, 0xbbad, -v133
	v_add_f16_e32 v137, v71, v137
	v_add_f16_e32 v71, v71, v119
	;; [unrolled: 1-line block ×4, first 2 shown]
	v_mul_f16_e32 v128, 0x3beb, v126
	v_mul_f16_e32 v126, 0x3853, v126
	v_add_f16_e32 v129, v132, v129
	v_fmamk_f16 v125, v127, 0xbbad, v133
	v_add_f16_e32 v115, v131, v115
	v_fmamk_f16 v124, v127, 0xb08e, v128
	v_fma_f16 v128, v127, 0xb08e, -v128
	v_fmamk_f16 v132, v127, 0x3abb, v126
	v_fma_f16 v126, v127, 0x3abb, -v126
	v_sub_f16_e32 v121, v121, v122
	v_add_f16_e32 v125, v125, v136
	v_add_f16_e32 v114, v128, v114
	v_add_f16_e32 v127, v132, v130
	v_fmamk_f16 v128, v109, 0xb08e, v110
	v_mul_f16_e32 v130, 0x3482, v123
	v_add_f16_e32 v71, v126, v71
	v_fma_f16 v110, v109, 0xb08e, -v110
	v_mul_f16_e32 v126, 0x3b47, v123
	v_add_f16_e32 v119, v128, v119
	v_fmamk_f16 v128, v109, 0xbbad, v130
	v_fma_f16 v130, v109, 0xbbad, -v130
	v_add_f16_e32 v110, v110, v115
	v_fmamk_f16 v115, v109, 0x36a6, v126
	v_fma_f16 v126, v109, 0x36a6, -v126
	v_mul_f16_e32 v122, 0xba0c, v123
	v_add_f16_e32 v113, v130, v113
	v_mul_f16_e32 v130, 0xb853, v123
	v_add_f16_e32 v105, v105, v106
	;; [unrolled: 2-line block ×3, first 2 shown]
	v_add_f16_e32 v125, v126, v129
	v_fmamk_f16 v123, v109, 0x3abb, v130
	v_fma_f16 v126, v109, 0x3abb, -v130
	v_fmamk_f16 v129, v109, 0xb93d, v122
	v_fma_f16 v109, v109, 0xb93d, -v122
	v_fmamk_f16 v122, v105, 0xb93d, v106
	v_add_f16_e32 v124, v124, v137
	v_add_f16_e32 v114, v126, v114
	v_fma_f16 v106, v105, 0xb93d, -v106
	v_mul_f16_e32 v126, 0x3beb, v121
	v_add_f16_e32 v71, v109, v71
	v_add_f16_e32 v109, v122, v119
	v_mul_f16_e32 v119, 0xb853, v121
	v_add_f16_e32 v123, v123, v124
	v_add_f16_e32 v124, v129, v127
	;; [unrolled: 1-line block ×3, first 2 shown]
	v_fmamk_f16 v110, v105, 0xb08e, v126
	v_fma_f16 v122, v105, 0xb08e, -v126
	v_mul_f16_e32 v126, 0xb482, v121
	v_fmamk_f16 v127, v105, 0x3abb, v119
	v_fma_f16 v119, v105, 0x3abb, -v119
	v_sub_f16_e32 v116, v116, v117
	v_add_f16_e32 v117, v58, v97
	v_add_f16_e32 v113, v122, v113
	v_fmamk_f16 v122, v105, 0xbbad, v126
	v_add_f16_e32 v119, v119, v125
	v_fma_f16 v125, v105, 0xbbad, -v126
	v_mul_f16_e32 v121, 0x3b47, v121
	v_add_f16_e32 v131, v139, v135
	v_add_f16_e32 v122, v122, v123
	;; [unrolled: 1-line block ×5, first 2 shown]
	v_fmamk_f16 v123, v105, 0x36a6, v121
	v_mul_f16_e32 v102, 0xb482, v116
	v_add_f16_e32 v128, v128, v131
	v_fma_f16 v105, v105, 0x36a6, -v121
	v_add_f16_e32 v114, v114, v88
	v_add_f16_e32 v117, v123, v124
	v_mul_f16_e32 v121, 0x3853, v116
	v_fmamk_f16 v123, v100, 0xbbad, v102
	v_fma_f16 v102, v100, 0xbbad, -v102
	v_add_f16_e32 v114, v114, v85
	v_add_f16_e32 v110, v110, v128
	v_fmamk_f16 v124, v100, 0x3abb, v121
	v_add_f16_e32 v115, v127, v115
	v_add_f16_e32 v102, v102, v106
	v_mul_f16_e32 v106, 0xba0c, v116
	v_add_f16_e32 v114, v114, v79
	v_add_f16_e32 v71, v105, v71
	v_add_f16_e32 v105, v123, v109
	v_add_f16_e32 v109, v124, v110
	v_fma_f16 v110, v100, 0x3abb, -v121
	v_fmamk_f16 v123, v100, 0xb93d, v106
	v_fma_f16 v124, v100, 0xb93d, -v106
	v_add_f16_e32 v114, v114, v80
	v_mul_f16_e32 v121, 0x3b47, v116
	v_add_f16_e32 v106, v110, v113
	v_add_f16_e32 v113, v123, v115
	;; [unrolled: 1-line block ×3, first 2 shown]
	v_mul_f16_e32 v115, 0xbbeb, v116
	v_add_f16_e32 v116, v114, v86
	v_sub_f16_e32 v119, v111, v112
	v_fmamk_f16 v126, v100, 0x36a6, v121
	v_fma_f16 v111, v100, 0x36a6, -v121
	v_fmamk_f16 v112, v100, 0xb08e, v115
	v_add_f16_e32 v116, v116, v90
	v_add_f16_e32 v97, v97, v99
	v_mul_f16_e32 v121, 0xb853, v119
	v_add_f16_e32 v114, v126, v122
	v_fma_f16 v100, v100, 0xb08e, -v115
	v_add_f16_e32 v112, v112, v117
	v_add_f16_e32 v116, v116, v96
	v_fmamk_f16 v117, v97, 0x3abb, v121
	v_mul_f16_e32 v122, 0xba0c, v119
	v_add_f16_e32 v115, v100, v71
	v_mul_f16_e32 v71, 0xbb47, v119
	v_add_f16_e32 v116, v116, v99
	v_add_f16_e32 v99, v58, v117
	v_mul_f16_e32 v117, 0xbbeb, v119
	v_fmamk_f16 v124, v97, 0xb93d, v122
	v_mul_f16_e32 v119, 0xb482, v119
	v_sub_f16_e32 v107, v107, v108
	v_fma_f16 v122, v97, 0xb93d, -v122
	v_fma_f16 v100, v97, 0x3abb, -v121
	v_add_f16_e32 v108, v58, v124
	v_fmamk_f16 v124, v97, 0xbbad, v119
	v_fmamk_f16 v121, v97, 0x36a6, v71
	v_fma_f16 v71, v97, 0x36a6, -v71
	v_fmamk_f16 v123, v97, 0xb08e, v117
	v_fma_f16 v117, v97, 0xb08e, -v117
	v_add_f16_e32 v93, v93, v96
	v_mul_f16_e32 v96, 0xbb47, v107
	v_fma_f16 v97, v97, 0xbbad, -v119
	v_add_f16_e32 v119, v58, v122
	v_add_f16_e32 v122, v58, v124
	v_mul_f16_e32 v124, 0xba0c, v107
	v_add_f16_e32 v111, v111, v125
	v_add_f16_e32 v100, v58, v100
	;; [unrolled: 1-line block ×6, first 2 shown]
	v_fmamk_f16 v125, v93, 0x36a6, v96
	v_add_f16_e32 v58, v58, v97
	v_fma_f16 v96, v93, 0x36a6, -v96
	v_mul_f16_e32 v97, 0x3482, v107
	v_fmamk_f16 v126, v93, 0xb93d, v124
	v_fma_f16 v124, v93, 0xb93d, -v124
	v_sub_f16_e32 v103, v103, v104
	v_add_f16_e32 v96, v96, v100
	v_fmamk_f16 v100, v93, 0xbbad, v97
	v_fma_f16 v97, v93, 0xbbad, -v97
	v_add_f16_e32 v71, v124, v71
	v_mul_f16_e32 v124, 0x3beb, v107
	v_mul_f16_e32 v107, 0x3853, v107
	v_add_f16_e32 v100, v100, v123
	v_add_f16_e32 v97, v97, v117
	;; [unrolled: 1-line block ×3, first 2 shown]
	v_fmamk_f16 v104, v93, 0xb08e, v124
	v_fma_f16 v117, v93, 0xb08e, -v124
	v_fmamk_f16 v123, v93, 0x3abb, v107
	v_mul_f16_e32 v90, 0xbbeb, v103
	v_fma_f16 v93, v93, 0x3abb, -v107
	v_add_f16_e32 v99, v125, v99
	v_add_f16_e32 v107, v117, v119
	v_mul_f16_e32 v119, 0x3482, v103
	v_fmamk_f16 v117, v88, 0xb08e, v90
	v_add_f16_e32 v58, v93, v58
	v_fma_f16 v90, v88, 0xb08e, -v90
	v_mul_f16_e32 v93, 0x3b47, v103
	v_add_f16_e32 v85, v85, v86
	v_add_f16_e32 v99, v117, v99
	v_fmamk_f16 v117, v88, 0xbbad, v119
	v_add_f16_e32 v90, v90, v96
	v_fmamk_f16 v96, v88, 0x36a6, v93
	v_fma_f16 v93, v88, 0x36a6, -v93
	v_fma_f16 v119, v88, 0xbbad, -v119
	v_add_f16_e32 v104, v104, v108
	v_sub_f16_e32 v94, v94, v95
	v_add_f16_e32 v96, v96, v100
	v_add_f16_e32 v93, v93, v97
	v_sub_f16_e32 v97, v98, v101
	v_add_f16_e32 v71, v119, v71
	v_mul_f16_e32 v119, 0xb853, v103
	v_mul_f16_e32 v98, 0xba0c, v103
	v_add_f16_e32 v95, v5, v77
	v_mul_f16_e32 v86, 0xba0c, v97
	v_add_f16_e32 v121, v126, v121
	v_fmamk_f16 v100, v88, 0x3abb, v119
	v_fma_f16 v101, v88, 0x3abb, -v119
	v_fmamk_f16 v103, v88, 0xb93d, v98
	v_fma_f16 v88, v88, 0xb93d, -v98
	v_fmamk_f16 v98, v85, 0xb93d, v86
	v_add_f16_e32 v100, v100, v104
	v_fma_f16 v86, v85, 0xb93d, -v86
	v_mul_f16_e32 v104, 0x3beb, v97
	v_add_f16_e32 v58, v88, v58
	v_add_f16_e32 v88, v98, v99
	v_mul_f16_e32 v98, 0xb853, v97
	v_add_f16_e32 v101, v101, v107
	v_add_f16_e32 v86, v86, v90
	v_fmamk_f16 v90, v85, 0xb08e, v104
	v_fma_f16 v99, v85, 0xb08e, -v104
	v_mul_f16_e32 v104, 0xb482, v97
	v_fmamk_f16 v107, v85, 0x3abb, v98
	v_fma_f16 v98, v85, 0x3abb, -v98
	v_mul_f16_e32 v97, 0x3b47, v97
	v_add_f16_e32 v71, v99, v71
	v_fmamk_f16 v99, v85, 0xbbad, v104
	v_add_f16_e32 v79, v79, v80
	v_add_f16_e32 v93, v98, v93
	v_fma_f16 v98, v85, 0xbbad, -v104
	v_mul_f16_e32 v80, 0xb482, v94
	v_add_f16_e32 v95, v95, v72
	v_add_f16_e32 v108, v123, v122
	;; [unrolled: 1-line block ×4, first 2 shown]
	v_fmamk_f16 v100, v85, 0x36a6, v97
	v_add_f16_e32 v98, v98, v101
	v_fma_f16 v85, v85, 0x36a6, -v97
	v_mul_f16_e32 v97, 0x3853, v94
	v_fmamk_f16 v101, v79, 0xbbad, v80
	v_add_f16_e32 v95, v95, v69
	v_add_f16_e32 v103, v103, v108
	;; [unrolled: 1-line block ×3, first 2 shown]
	v_fma_f16 v80, v79, 0xbbad, -v80
	v_add_f16_e32 v58, v85, v58
	v_fmamk_f16 v85, v79, 0x3abb, v97
	v_add_f16_e32 v101, v101, v88
	v_add_f16_e32 v88, v95, v67
	;; [unrolled: 1-line block ×5, first 2 shown]
	v_fma_f16 v85, v79, 0x3abb, -v97
	v_add_f16_e32 v86, v88, v59
	v_mul_f16_e32 v88, 0x3b47, v94
	v_add_f16_e32 v96, v107, v96
	v_mul_f16_e32 v80, 0xba0c, v94
	v_add_f16_e32 v107, v85, v71
	v_add_f16_e32 v71, v86, v66
	v_fmamk_f16 v85, v79, 0x36a6, v88
	v_fma_f16 v86, v79, 0x36a6, -v88
	v_fmamk_f16 v90, v79, 0xb93d, v80
	v_fma_f16 v80, v79, 0xb93d, -v80
	v_add_f16_e32 v71, v71, v68
	v_add_f16_e32 v119, v85, v99
	v_sub_f16_e32 v85, v89, v92
	v_add_f16_e32 v77, v77, v81
	v_add_f16_e32 v117, v80, v93
	v_mul_f16_e32 v80, 0xbbeb, v94
	v_add_f16_e32 v71, v71, v70
	v_mul_f16_e32 v89, 0xb853, v85
	v_add_f16_e32 v121, v86, v98
	v_mul_f16_e32 v86, 0xba0c, v85
	v_fmamk_f16 v88, v79, 0xb08e, v80
	v_fma_f16 v79, v79, 0xb08e, -v80
	v_add_f16_e32 v71, v71, v75
	v_fmamk_f16 v80, v77, 0x3abb, v89
	v_sub_f16_e32 v84, v84, v87
	v_add_f16_e32 v122, v88, v100
	v_add_f16_e32 v123, v79, v58
	v_mul_f16_e32 v58, 0xbb47, v85
	v_fma_f16 v79, v77, 0x3abb, -v89
	v_add_f16_e32 v124, v71, v81
	v_add_f16_e32 v71, v5, v80
	v_mul_f16_e32 v80, 0xbbeb, v85
	v_fmamk_f16 v89, v77, 0xb93d, v86
	v_mul_f16_e32 v85, 0xb482, v85
	v_fmamk_f16 v81, v77, 0x36a6, v58
	v_fma_f16 v58, v77, 0x36a6, -v58
	v_fmamk_f16 v88, v77, 0xb08e, v80
	v_fma_f16 v80, v77, 0xb08e, -v80
	v_add_f16_e32 v87, v5, v89
	v_fma_f16 v86, v77, 0xb93d, -v86
	v_fmamk_f16 v89, v77, 0xbbad, v85
	v_add_f16_e32 v72, v72, v75
	v_mul_f16_e32 v75, 0xbb47, v84
	v_fma_f16 v77, v77, 0xbbad, -v85
	v_add_f16_e32 v108, v90, v96
	v_add_f16_e32 v79, v5, v79
	;; [unrolled: 1-line block ×8, first 2 shown]
	v_mul_f16_e32 v89, 0xba0c, v84
	v_fmamk_f16 v90, v72, 0x36a6, v75
	v_add_f16_e32 v5, v5, v77
	v_fma_f16 v75, v72, 0x36a6, -v75
	v_mul_f16_e32 v77, 0x3482, v84
	v_fmamk_f16 v92, v72, 0xb93d, v89
	v_fma_f16 v89, v72, 0xb93d, -v89
	v_add_f16_e32 v69, v69, v70
	v_add_f16_e32 v75, v75, v79
	v_fmamk_f16 v79, v72, 0xbbad, v77
	v_fma_f16 v77, v72, 0xbbad, -v77
	v_add_f16_e32 v58, v89, v58
	v_mul_f16_e32 v89, 0x3beb, v84
	v_mul_f16_e32 v84, 0x3853, v84
	v_add_f16_e32 v79, v79, v88
	v_add_f16_e32 v77, v77, v80
	v_sub_f16_e32 v80, v82, v83
	v_fmamk_f16 v82, v72, 0xb08e, v89
	v_fma_f16 v83, v72, 0xb08e, -v89
	v_fmamk_f16 v88, v72, 0x3abb, v84
	v_fma_f16 v72, v72, 0x3abb, -v84
	v_mul_f16_e32 v70, 0xbbeb, v80
	v_add_f16_e32 v71, v90, v71
	v_add_f16_e32 v83, v83, v85
	;; [unrolled: 1-line block ×3, first 2 shown]
	v_mul_f16_e32 v86, 0x3482, v80
	v_fmamk_f16 v85, v69, 0xb08e, v70
	v_add_f16_e32 v5, v72, v5
	v_fma_f16 v70, v69, 0xb08e, -v70
	v_mul_f16_e32 v72, 0x3b47, v80
	v_add_f16_e32 v81, v92, v81
	v_add_f16_e32 v71, v85, v71
	v_fmamk_f16 v85, v69, 0xbbad, v86
	v_add_f16_e32 v70, v70, v75
	v_fmamk_f16 v75, v69, 0x36a6, v72
	v_fma_f16 v72, v69, 0x36a6, -v72
	v_sub_f16_e32 v76, v76, v78
	v_add_f16_e32 v81, v85, v81
	v_mul_f16_e32 v85, 0xb853, v80
	v_add_f16_e32 v67, v67, v68
	v_add_f16_e32 v72, v72, v77
	v_mul_f16_e32 v77, 0xba0c, v80
	v_mul_f16_e32 v68, 0xba0c, v76
	v_fma_f16 v86, v69, 0xbbad, -v86
	v_add_f16_e32 v75, v75, v79
	v_fmamk_f16 v78, v69, 0x3abb, v85
	v_fma_f16 v79, v69, 0x3abb, -v85
	v_fmamk_f16 v80, v69, 0xb93d, v77
	v_fma_f16 v69, v69, 0xb93d, -v77
	v_fmamk_f16 v77, v67, 0xb93d, v68
	v_add_f16_e32 v82, v82, v87
	v_add_f16_e32 v79, v79, v83
	v_fma_f16 v68, v67, 0xb93d, -v68
	v_add_f16_e32 v5, v69, v5
	v_add_f16_e32 v69, v77, v71
	v_mul_f16_e32 v71, 0xb853, v76
	v_add_f16_e32 v78, v78, v82
	v_mul_f16_e32 v82, 0x3beb, v76
	v_add_f16_e32 v58, v86, v58
	v_add_f16_e32 v68, v68, v70
	v_fmamk_f16 v83, v67, 0x3abb, v71
	v_fma_f16 v71, v67, 0x3abb, -v71
	v_fmamk_f16 v77, v67, 0xb08e, v82
	v_fma_f16 v70, v67, 0xb08e, -v82
	v_mul_f16_e32 v82, 0xb482, v76
	v_mul_f16_e32 v76, 0x3b47, v76
	v_add_f16_e32 v71, v71, v72
	v_sub_f16_e32 v72, v73, v74
	v_add_f16_e32 v58, v70, v58
	v_fmamk_f16 v70, v67, 0xbbad, v82
	v_add_f16_e32 v59, v59, v66
	v_fma_f16 v73, v67, 0xbbad, -v82
	v_mul_f16_e32 v66, 0xb482, v72
	v_fmamk_f16 v74, v67, 0x36a6, v76
	v_add_f16_e32 v70, v70, v78
	v_fma_f16 v67, v67, 0x36a6, -v76
	v_mul_f16_e32 v76, 0x3853, v72
	v_fmamk_f16 v78, v59, 0xbbad, v66
	v_fma_f16 v66, v59, 0xbbad, -v66
	v_add_f16_e32 v80, v80, v84
	v_add_f16_e32 v5, v67, v5
	v_mul_f16_e32 v67, 0xba0c, v72
	v_add_f16_e32 v125, v78, v69
	v_fma_f16 v69, v59, 0x3abb, -v76
	v_add_f16_e32 v75, v83, v75
	v_add_f16_e32 v126, v66, v68
	v_fmamk_f16 v66, v59, 0xb93d, v67
	v_mul_f16_e32 v68, 0x3b47, v72
	v_add_f16_e32 v128, v69, v58
	v_mul_f16_e32 v58, 0xbbeb, v72
	v_add_f16_e32 v77, v77, v81
	v_add_f16_e32 v73, v73, v79
	v_add_f16_e32 v74, v74, v80
	v_fmamk_f16 v79, v59, 0x3abb, v76
	v_add_f16_e32 v129, v66, v75
	v_fma_f16 v66, v59, 0xb93d, -v67
	v_fmamk_f16 v67, v59, 0x36a6, v68
	v_fma_f16 v68, v59, 0x36a6, -v68
	v_fmamk_f16 v69, v59, 0xb08e, v58
	v_fma_f16 v58, v59, 0xb08e, -v58
	v_add_f16_e32 v127, v79, v77
	v_add_f16_e32 v130, v66, v71
	;; [unrolled: 1-line block ×6, first 2 shown]
	s_waitcnt lgkmcnt(0)
	s_barrier
	buffer_gl0_inv
	ds_read_u16 v81, v54 offset:3190
	ds_read_u16 v69, v55
	ds_read_u16 v66, v56
	;; [unrolled: 1-line block ×3, first 2 shown]
	v_lshl_add_u32 v58, v8, 1, 0
	v_lshl_add_u32 v59, v50, 1, 0
	ds_read_u16 v97, v54 offset:1540
	ds_read_u16 v92, v54 offset:1650
	;; [unrolled: 1-line block ×17, first 2 shown]
	ds_read_u16 v71, v54
	ds_read_u16 v98, v54 offset:770
	ds_read_u16 v96, v54 offset:880
	;; [unrolled: 1-line block ×11, first 2 shown]
	ds_read_u16 v70, v58
	ds_read_u16 v75, v54 offset:3740
	s_waitcnt lgkmcnt(0)
	s_barrier
	buffer_gl0_inv
	ds_write_b16 v91, v25
	ds_write_b16 v91, v105 offset:14
	ds_write_b16 v91, v109 offset:28
	ds_write_b16 v91, v113 offset:42
	ds_write_b16 v91, v114 offset:56
	ds_write_b16 v91, v112 offset:70
	ds_write_b16 v91, v115 offset:84
	ds_write_b16 v91, v111 offset:98
	ds_write_b16 v91, v110 offset:112
	ds_write_b16 v91, v106 offset:126
	ds_write_b16 v91, v102 offset:140
	ds_write_b16 v118, v116
	ds_write_b16 v118, v101 offset:14
	ds_write_b16 v118, v104 offset:28
	ds_write_b16 v118, v108 offset:42
	ds_write_b16 v118, v119 offset:56
	ds_write_b16 v118, v122 offset:70
	ds_write_b16 v118, v123 offset:84
	ds_write_b16 v118, v121 offset:98
	ds_write_b16 v118, v117 offset:112
	ds_write_b16 v118, v107 offset:126
	ds_write_b16 v118, v103 offset:140
	;; [unrolled: 11-line block ×3, first 2 shown]
	s_and_saveexec_b32 s1, s0
	s_cbranch_execz .LBB0_21
; %bb.20:
	v_add_f16_e32 v25, v0, v24
	v_sub_f16_e32 v64, v64, v65
	v_add_f16_e32 v65, v23, v17
	v_add_f16_e32 v24, v24, v19
	v_sub_f16_e32 v62, v62, v63
	v_add_f16_e32 v23, v25, v23
	v_mul_f16_e32 v63, 0xbb47, v64
	v_mul_f16_e32 v91, 0xbbeb, v64
	v_mul_f16_e32 v25, 0xb853, v64
	v_mul_f16_e32 v103, 0xba0c, v62
	v_add_f16_e32 v23, v23, v11
	v_fmamk_f16 v106, v24, 0x36a6, v63
	v_fma_f16 v63, v24, 0x36a6, -v63
	v_mul_f16_e32 v101, 0xba0c, v64
	v_mul_f16_e32 v64, 0xb482, v64
	v_add_f16_e32 v23, v23, v9
	v_mul_f16_e32 v104, 0x3482, v62
	v_fmamk_f16 v107, v24, 0xb08e, v91
	v_fma_f16 v91, v24, 0xb08e, -v91
	v_add_f16_e32 v63, v0, v63
	v_add_f16_e32 v23, v23, v6
	v_mul_f16_e32 v102, 0xbb47, v62
	v_fmamk_f16 v105, v24, 0x3abb, v25
	v_fmamk_f16 v108, v24, 0xb93d, v101
	v_fma_f16 v101, v24, 0xb93d, -v101
	v_add_f16_e32 v23, v23, v7
	v_fmamk_f16 v109, v24, 0xbbad, v64
	v_fmamk_f16 v110, v65, 0xb93d, v103
	v_add_f16_e32 v91, v0, v91
	v_sub_f16_e32 v60, v60, v61
	v_add_f16_e32 v23, v23, v10
	v_fma_f16 v25, v24, 0x3abb, -v25
	v_fma_f16 v24, v24, 0xbbad, -v64
	v_fmamk_f16 v64, v65, 0x36a6, v102
	v_add_f16_e32 v105, v0, v105
	v_add_f16_e32 v23, v23, v16
	;; [unrolled: 1-line block ×3, first 2 shown]
	v_mul_f16_e32 v16, 0xbbeb, v60
	v_fma_f16 v102, v65, 0x36a6, -v102
	v_add_f16_e32 v25, v0, v25
	v_add_f16_e32 v17, v23, v17
	;; [unrolled: 1-line block ×7, first 2 shown]
	v_fma_f16 v19, v65, 0xb93d, -v103
	v_fma_f16 v103, v65, 0xbbad, -v104
	v_add_f16_e32 v108, v0, v108
	v_add_f16_e32 v0, v0, v24
	;; [unrolled: 1-line block ×4, first 2 shown]
	v_mul_f16_e32 v63, 0x3beb, v62
	v_mul_f16_e32 v62, 0x3853, v62
	v_add_f16_e32 v91, v103, v91
	v_fmamk_f16 v64, v65, 0xbbad, v104
	v_add_f16_e32 v25, v102, v25
	v_fmamk_f16 v61, v65, 0xb08e, v63
	v_fma_f16 v63, v65, 0xb08e, -v63
	v_fmamk_f16 v103, v65, 0x3abb, v62
	v_fma_f16 v62, v65, 0x3abb, -v62
	;; [unrolled: 2-line block ×3, first 2 shown]
	v_add_f16_e32 v23, v63, v23
	v_add_f16_e32 v63, v103, v101
	v_mul_f16_e32 v101, 0x3482, v60
	v_add_f16_e32 v0, v62, v0
	v_mul_f16_e32 v62, 0x3b47, v60
	v_add_f16_e32 v24, v65, v24
	v_add_f16_e32 v16, v16, v25
	v_fmamk_f16 v65, v11, 0xbbad, v101
	v_fma_f16 v101, v11, 0xbbad, -v101
	v_fmamk_f16 v25, v11, 0x36a6, v62
	v_fma_f16 v62, v11, 0x36a6, -v62
	v_sub_f16_e32 v18, v18, v22
	v_mul_f16_e32 v22, 0xba0c, v60
	v_add_f16_e32 v19, v101, v19
	v_mul_f16_e32 v101, 0xb853, v60
	v_add_f16_e32 v64, v64, v107
	v_add_f16_e32 v61, v61, v108
	;; [unrolled: 1-line block ×4, first 2 shown]
	v_fmamk_f16 v60, v11, 0x3abb, v101
	v_mul_f16_e32 v10, 0xba0c, v18
	v_fmamk_f16 v91, v11, 0xb93d, v22
	v_add_f16_e32 v102, v110, v106
	v_add_f16_e32 v25, v25, v64
	v_fma_f16 v64, v11, 0x3abb, -v101
	v_add_f16_e32 v60, v60, v61
	v_fma_f16 v11, v11, 0xb93d, -v22
	v_fmamk_f16 v22, v9, 0xb93d, v10
	v_add_f16_e32 v61, v91, v63
	v_mul_f16_e32 v63, 0x3beb, v18
	v_fma_f16 v10, v9, 0xb93d, -v10
	v_add_f16_e32 v65, v65, v102
	v_add_f16_e32 v0, v11, v0
	;; [unrolled: 1-line block ×3, first 2 shown]
	v_mul_f16_e32 v22, 0xb853, v18
	v_fmamk_f16 v24, v9, 0xb08e, v63
	v_add_f16_e32 v10, v10, v16
	v_mul_f16_e32 v16, 0xb482, v18
	v_mul_f16_e32 v18, 0x3b47, v18
	v_sub_f16_e32 v14, v14, v15
	v_add_f16_e32 v23, v64, v23
	v_fma_f16 v63, v9, 0xb08e, -v63
	v_fmamk_f16 v64, v9, 0x3abb, v22
	v_add_f16_e32 v24, v24, v65
	v_fma_f16 v22, v9, 0x3abb, -v22
	v_fmamk_f16 v65, v9, 0xbbad, v16
	v_fma_f16 v15, v9, 0xbbad, -v16
	v_fmamk_f16 v16, v9, 0x36a6, v18
	v_fma_f16 v9, v9, 0x36a6, -v18
	v_add_f16_e32 v6, v6, v7
	v_mul_f16_e32 v7, 0xb482, v14
	v_mul_f16_e32 v18, 0x3853, v14
	v_add_f16_e32 v15, v15, v23
	v_add_f16_e32 v0, v9, v0
	v_mul_f16_e32 v23, 0xba0c, v14
	v_fmamk_f16 v9, v6, 0xbbad, v7
	v_add_f16_e32 v19, v63, v19
	v_add_f16_e32 v16, v16, v61
	v_fma_f16 v7, v6, 0xbbad, -v7
	v_fmamk_f16 v61, v6, 0x3abb, v18
	v_fma_f16 v18, v6, 0x3abb, -v18
	v_add_f16_e32 v25, v64, v25
	v_add_f16_e32 v9, v9, v11
	v_fmamk_f16 v11, v6, 0xb93d, v23
	v_add_f16_e32 v7, v7, v10
	v_add_f16_e32 v10, v61, v24
	;; [unrolled: 1-line block ×3, first 2 shown]
	v_fma_f16 v19, v6, 0xb93d, -v23
	v_mov_b32_e32 v23, 0x9a
	v_mov_b32_e32 v24, 1
	v_add_f16_e32 v22, v22, v62
	v_add_f16_e32 v11, v11, v25
	v_mul_f16_e32 v25, 0x3b47, v14
	v_mul_f16_e32 v14, 0xbbeb, v14
	v_mul_u32_u24_sdwa v3, v3, v23 dst_sel:DWORD dst_unused:UNUSED_PAD src0_sel:WORD_0 src1_sel:DWORD
	v_lshlrev_b32_sdwa v4, v24, v4 dst_sel:DWORD dst_unused:UNUSED_PAD src0_sel:DWORD src1_sel:BYTE_0
	v_add_f16_e32 v60, v65, v60
	v_add_f16_e32 v19, v19, v22
	v_fmamk_f16 v22, v6, 0x36a6, v25
	v_fma_f16 v23, v6, 0x36a6, -v25
	v_fmamk_f16 v24, v6, 0xb08e, v14
	v_fma_f16 v6, v6, 0xb08e, -v14
	v_add3_u32 v3, 0, v3, v4
	v_add_f16_e32 v4, v22, v60
	v_add_f16_e32 v14, v23, v15
	;; [unrolled: 1-line block ×4, first 2 shown]
	ds_write_b16 v3, v17
	ds_write_b16 v3, v9 offset:14
	ds_write_b16 v3, v10 offset:28
	;; [unrolled: 1-line block ×10, first 2 shown]
.LBB0_21:
	s_or_b32 exec_lo, exec_lo, s1
	v_lshlrev_b32_e32 v22, 2, v50
	v_mov_b32_e32 v23, 0
	v_subrev_nc_u32_e32 v0, 22, v50
	v_cmp_gt_u32_e64 s0, 22, v50
	v_mul_lo_u16 v1, 0xd5, v1
	v_mul_lo_u16 v2, 0xd5, v2
	v_lshlrev_b64 v[3:4], 2, v[22:23]
	s_waitcnt lgkmcnt(0)
	v_cndmask_b32_e64 v0, v0, v53, s0
	s_barrier
	buffer_gl0_inv
	v_add_co_u32 v24, s0, s8, v3
	v_add_co_ci_u32_e64 v25, s0, s9, v4, s0
	v_lshrrev_b16 v4, 14, v1
	v_lshlrev_b32_e32 v22, 2, v0
	v_mov_b32_e32 v3, 4
	global_load_dwordx4 v[60:63], v[24:25], off offset:280
	v_lshlrev_b32_e32 v0, 1, v0
	v_mul_lo_u16 v1, 0x4d, v4
	v_lshlrev_b64 v[6:7], 2, v[22:23]
	v_sub_nc_u16 v10, v12, v1
	v_add_co_u32 v6, s0, s8, v6
	v_add_co_ci_u32_e64 v7, s0, s9, v7, s0
	v_lshlrev_b32_sdwa v1, v3, v10 dst_sel:DWORD dst_unused:UNUSED_PAD src0_sel:DWORD src1_sel:BYTE_0
	v_cmp_lt_u32_e64 s0, 21, v50
	s_clause 0x1
	global_load_dwordx4 v[104:107], v[6:7], off offset:280
	global_load_dwordx4 v[115:118], v1, s[8:9] offset:280
	v_lshrrev_b16 v1, 14, v2
	v_mov_b32_e32 v2, 0x1a99
	v_mul_lo_u16 v1, 0x4d, v1
	v_mul_u32_u24_sdwa v6, v8, v2 dst_sel:DWORD dst_unused:UNUSED_PAD src0_sel:WORD_0 src1_sel:DWORD
	v_sub_nc_u16 v1, v13, v1
	v_lshrrev_b32_e32 v14, 19, v6
	v_and_b32_e32 v15, 0xff, v1
	v_mul_u32_u24_sdwa v1, v31, v2 dst_sel:DWORD dst_unused:UNUSED_PAD src0_sel:WORD_0 src1_sel:DWORD
	v_mul_lo_u16 v6, 0x4d, v14
	v_mul_u32_u24_e32 v14, 0x302, v14
	v_lshlrev_b32_e32 v7, 4, v15
	v_lshrrev_b32_e32 v16, 19, v1
	v_sub_nc_u16 v18, v8, v6
	global_load_dwordx4 v[119:122], v7, s[8:9] offset:280
	v_mul_lo_u16 v1, 0x4d, v16
	v_lshlrev_b32_sdwa v6, v3, v18 dst_sel:DWORD dst_unused:UNUSED_PAD src0_sel:DWORD src1_sel:WORD_0
	v_sub_nc_u16 v17, v31, v1
	global_load_dwordx4 v[123:126], v6, s[8:9] offset:280
	v_lshlrev_b32_sdwa v1, v3, v17 dst_sel:DWORD dst_unused:UNUSED_PAD src0_sel:DWORD src1_sel:WORD_0
	global_load_dwordx4 v[127:130], v1, s[8:9] offset:280
	v_mul_u32_u24_sdwa v1, v26, v2 dst_sel:DWORD dst_unused:UNUSED_PAD src0_sel:WORD_0 src1_sel:DWORD
	v_lshrrev_b32_e32 v1, 19, v1
	v_mul_lo_u16 v1, 0x4d, v1
	v_sub_nc_u16 v1, v26, v1
	v_and_b32_e32 v19, 0xffff, v1
	v_lshlrev_b32_e32 v1, 4, v19
	global_load_dwordx4 v[131:134], v1, s[8:9] offset:280
	ds_read_u16 v7, v54
	ds_read_u16 v22, v54 offset:770
	ds_read_u16 v64, v54 offset:2310
	;; [unrolled: 1-line block ×4, first 2 shown]
	ds_read_u16 v9, v55
	ds_read_u16 v3, v56
	;; [unrolled: 1-line block ×3, first 2 shown]
	ds_read_u16 v101, v54 offset:1540
	ds_read_u16 v108, v54 offset:1650
	;; [unrolled: 1-line block ×25, first 2 shown]
	ds_read_u16 v11, v58
	ds_read_u16 v154, v54 offset:3740
	s_waitcnt vmcnt(0) lgkmcnt(0)
	s_barrier
	buffer_gl0_inv
	v_mul_f16_sdwa v102, v22, v60 dst_sel:DWORD dst_unused:UNUSED_PAD src0_sel:DWORD src1_sel:WORD_1
	v_mul_f16_sdwa v103, v98, v60 dst_sel:DWORD dst_unused:UNUSED_PAD src0_sel:DWORD src1_sel:WORD_1
	;; [unrolled: 1-line block ×8, first 2 shown]
	v_fma_f16 v98, v98, v60, -v102
	v_fmac_f16_e32 v103, v22, v60
	v_fma_f16 v22, v97, v61, -v111
	v_fmac_f16_e32 v155, v101, v61
	;; [unrolled: 2-line block ×4, first 2 shown]
	v_mul_f16_sdwa v60, v146, v104 dst_sel:DWORD dst_unused:UNUSED_PAD src0_sel:DWORD src1_sel:WORD_1
	v_mul_f16_sdwa v62, v108, v105 dst_sel:DWORD dst_unused:UNUSED_PAD src0_sel:DWORD src1_sel:WORD_1
	;; [unrolled: 1-line block ×11, first 2 shown]
	v_fma_f16 v96, v96, v104, -v60
	v_fma_f16 v92, v92, v105, -v62
	;; [unrolled: 1-line block ×3, first 2 shown]
	v_mul_f16_sdwa v64, v91, v107 dst_sel:DWORD dst_unused:UNUSED_PAD src0_sel:DWORD src1_sel:WORD_1
	v_mul_f16_sdwa v65, v147, v115 dst_sel:DWORD dst_unused:UNUSED_PAD src0_sel:DWORD src1_sel:WORD_1
	;; [unrolled: 1-line block ×5, first 2 shown]
	v_add_f16_e32 v169, v22, v61
	v_fmac_f16_e32 v99, v146, v104
	v_fmac_f16_e32 v160, v91, v107
	v_fma_f16 v88, v88, v116, -v162
	v_fmac_f16_e32 v163, v109, v116
	v_fma_f16 v89, v89, v117, -v164
	v_fmac_f16_e32 v165, v138, v117
	v_add_f16_e32 v109, v69, v96
	v_add_f16_e32 v168, v71, v98
	v_mul_f16_sdwa v187, v110, v120 dst_sel:DWORD dst_unused:UNUSED_PAD src0_sel:DWORD src1_sel:WORD_1
	v_mul_f16_sdwa v188, v82, v120 dst_sel:DWORD dst_unused:UNUSED_PAD src0_sel:DWORD src1_sel:WORD_1
	;; [unrolled: 1-line block ×9, first 2 shown]
	v_fma_f16 v116, v82, v120, -v187
	v_fmac_f16_e32 v188, v110, v120
	v_fma_f16 v117, v84, v121, -v189
	v_add_f16_e32 v110, v92, v94
	v_add_f16_e32 v174, v98, v97
	;; [unrolled: 1-line block ×4, first 2 shown]
	v_mul_f16_sdwa v198, v136, v128 dst_sel:DWORD dst_unused:UNUSED_PAD src0_sel:DWORD src1_sel:WORD_1
	v_add_f16_e32 v182, v103, v157
	v_mul_f16_sdwa v193, v149, v123 dst_sel:DWORD dst_unused:UNUSED_PAD src0_sel:DWORD src1_sel:WORD_1
	v_mul_f16_sdwa v111, v87, v123 dst_sel:DWORD dst_unused:UNUSED_PAD src0_sel:DWORD src1_sel:WORD_1
	;; [unrolled: 1-line block ×8, first 2 shown]
	v_fmac_f16_e32 v158, v108, v105
	v_fmac_f16_e32 v159, v137, v106
	v_fma_f16 v108, v81, v107, -v64
	v_fma_f16 v81, v95, v115, -v65
	v_fmac_f16_e32 v161, v147, v115
	v_fma_f16 v93, v93, v118, -v166
	v_fmac_f16_e32 v167, v142, v118
	v_fma_f16 v60, -0.5, v169, v71
	v_fma_f16 v115, v90, v119, -v185
	v_fmac_f16_e32 v186, v148, v119
	v_fma_f16 v118, v85, v122, -v191
	v_fmac_f16_e32 v192, v143, v122
	v_fma_f16 v119, v78, v124, -v194
	v_fma_f16 v78, v76, v128, -v198
	v_sub_f16_e32 v122, v99, v160
	v_sub_f16_e32 v170, v103, v157
	;; [unrolled: 1-line block ×7, first 2 shown]
	v_mul_f16_sdwa v82, v151, v131 dst_sel:DWORD dst_unused:UNUSED_PAD src0_sel:DWORD src1_sel:WORD_1
	v_mul_f16_sdwa v84, v153, v133 dst_sel:DWORD dst_unused:UNUSED_PAD src0_sel:DWORD src1_sel:WORD_1
	;; [unrolled: 1-line block ×3, first 2 shown]
	v_sub_f16_e32 v180, v103, v155
	v_sub_f16_e32 v183, v155, v103
	v_fma_f16 v169, v72, v131, -v82
	v_fma_f16 v82, v74, v133, -v84
	v_add_f16_e32 v84, v109, v92
	v_fma_f16 v74, -0.5, v110, v69
	v_mul_f16_sdwa v197, v150, v127 dst_sel:DWORD dst_unused:UNUSED_PAD src0_sel:DWORD src1_sel:WORD_1
	v_mul_f16_sdwa v100, v86, v127 dst_sel:DWORD dst_unused:UNUSED_PAD src0_sel:DWORD src1_sel:WORD_1
	v_mul_f16_sdwa v199, v141, v129 dst_sel:DWORD dst_unused:UNUSED_PAD src0_sel:DWORD src1_sel:WORD_1
	v_mul_f16_sdwa v102, v77, v129 dst_sel:DWORD dst_unused:UNUSED_PAD src0_sel:DWORD src1_sel:WORD_1
	v_mul_f16_sdwa v200, v145, v130 dst_sel:DWORD dst_unused:UNUSED_PAD src0_sel:DWORD src1_sel:WORD_1
	v_mul_f16_sdwa v103, v79, v130 dst_sel:DWORD dst_unused:UNUSED_PAD src0_sel:DWORD src1_sel:WORD_1
	v_add_f16_e32 v62, v168, v22
	v_fmac_f16_e32 v71, -0.5, v174
	v_add_f16_e32 v91, v177, v155
	v_fma_f16 v22, -0.5, v178, v7
	v_fmac_f16_e32 v7, -0.5, v182
	v_fmac_f16_e32 v190, v139, v121
	v_fma_f16 v87, v87, v123, -v193
	v_fmac_f16_e32 v111, v149, v123
	v_fmac_f16_e32 v112, v135, v124
	v_fma_f16 v120, v80, v125, -v195
	v_fmac_f16_e32 v113, v140, v125
	v_fma_f16 v121, v83, v126, -v196
	v_fmac_f16_e32 v114, v144, v126
	v_fmac_f16_e32 v101, v136, v128
	v_mul_f16_sdwa v83, v152, v132 dst_sel:DWORD dst_unused:UNUSED_PAD src0_sel:DWORD src1_sel:WORD_1
	v_sub_f16_e32 v123, v158, v159
	v_sub_f16_e32 v124, v96, v92
	;; [unrolled: 1-line block ×3, first 2 shown]
	v_add_f16_e32 v126, v96, v108
	v_sub_f16_e32 v128, v94, v108
	v_sub_f16_e32 v135, v92, v94
	v_add_f16_e32 v140, v66, v81
	v_add_f16_e32 v94, v84, v94
	v_fmamk_f16 v84, v122, 0x3b9c, v74
	v_fmac_f16_e32 v74, 0xbb9c, v122
	v_sub_f16_e32 v173, v97, v61
	v_sub_f16_e32 v176, v61, v97
	;; [unrolled: 1-line block ×4, first 2 shown]
	v_fma_f16 v80, v86, v127, -v197
	v_fmac_f16_e32 v100, v150, v127
	v_fma_f16 v77, v77, v129, -v199
	v_fmac_f16_e32 v102, v141, v129
	;; [unrolled: 2-line block ×3, first 2 shown]
	v_mul_f16_sdwa v64, v72, v131 dst_sel:DWORD dst_unused:UNUSED_PAD src0_sel:DWORD src1_sel:WORD_1
	v_mul_f16_sdwa v65, v73, v132 dst_sel:DWORD dst_unused:UNUSED_PAD src0_sel:DWORD src1_sel:WORD_1
	;; [unrolled: 1-line block ×3, first 2 shown]
	v_add_f16_e32 v86, v62, v61
	v_fmamk_f16 v62, v170, 0x3b9c, v60
	v_fmac_f16_e32 v60, 0xbb9c, v170
	v_fmamk_f16 v61, v171, 0xbb9c, v71
	v_fmac_f16_e32 v71, 0x3b9c, v171
	v_add_f16_e32 v107, v91, v156
	v_fmamk_f16 v90, v98, 0xbb9c, v22
	v_fmac_f16_e32 v22, 0x3b9c, v98
	v_fmamk_f16 v91, v179, 0x3b9c, v7
	v_fmac_f16_e32 v7, 0xbb9c, v179
	v_sub_f16_e32 v127, v92, v96
	v_add_f16_e32 v129, v9, v99
	v_add_f16_e32 v130, v158, v159
	;; [unrolled: 1-line block ×4, first 2 shown]
	v_sub_f16_e32 v144, v81, v88
	v_add_f16_e32 v146, v81, v93
	v_sub_f16_e32 v147, v88, v81
	v_sub_f16_e32 v155, v81, v93
	;; [unrolled: 1-line block ×3, first 2 shown]
	v_fma_f16 v81, v73, v132, -v83
	v_add_f16_e32 v72, v5, v115
	v_add_f16_e32 v83, v116, v117
	;; [unrolled: 1-line block ×3, first 2 shown]
	v_fmac_f16_e32 v69, -0.5, v126
	v_add_f16_e32 v88, v140, v88
	v_fmac_f16_e32 v84, 0x38b4, v123
	v_fmac_f16_e32 v74, 0xb8b4, v123
	v_add_f16_e32 v95, v172, v173
	v_add_f16_e32 v104, v175, v176
	;; [unrolled: 1-line block ×3, first 2 shown]
	v_mul_f16_sdwa v63, v75, v134 dst_sel:DWORD dst_unused:UNUSED_PAD src0_sel:DWORD src1_sel:WORD_1
	v_sub_f16_e32 v96, v96, v108
	v_fmac_f16_e32 v64, v151, v131
	v_fmac_f16_e32 v65, v152, v132
	v_fma_f16 v131, v75, v134, -v85
	v_sub_f16_e32 v132, v186, v192
	v_add_f16_e32 v75, v86, v97
	v_fmac_f16_e32 v62, 0x38b4, v171
	v_fmac_f16_e32 v60, 0xb8b4, v171
	;; [unrolled: 1-line block ×8, first 2 shown]
	v_add_f16_e32 v86, v129, v158
	v_fma_f16 v98, -0.5, v130, v9
	v_fmac_f16_e32 v9, -0.5, v138
	v_add_f16_e32 v130, v72, v116
	v_fma_f16 v72, -0.5, v83, v5
	v_fmamk_f16 v85, v123, 0xbb9c, v69
	v_fmac_f16_e32 v69, 0x3b9c, v123
	v_add_f16_e32 v88, v88, v89
	v_fmac_f16_e32 v84, 0x34f2, v92
	v_fmac_f16_e32 v74, 0x34f2, v92
	v_add_f16_e32 v92, v115, v118
	v_sub_f16_e32 v136, v99, v158
	v_sub_f16_e32 v137, v160, v159
	;; [unrolled: 1-line block ×6, first 2 shown]
	v_add_f16_e32 v150, v163, v165
	v_fmac_f16_e32 v76, v153, v133
	v_fmac_f16_e32 v63, v154, v134
	v_sub_f16_e32 v133, v188, v190
	v_sub_f16_e32 v134, v115, v116
	;; [unrolled: 1-line block ×3, first 2 shown]
	v_add_f16_e32 v110, v127, v128
	v_fmac_f16_e32 v62, 0x34f2, v95
	v_fmac_f16_e32 v60, 0x34f2, v95
	;; [unrolled: 1-line block ×6, first 2 shown]
	v_add_f16_e32 v95, v86, v159
	v_fmamk_f16 v104, v96, 0xbb9c, v98
	v_fmac_f16_e32 v98, 0x3b9c, v96
	v_fmamk_f16 v105, v135, 0x3b9c, v9
	v_fmac_f16_e32 v9, 0xbb9c, v135
	;; [unrolled: 2-line block ×3, first 2 shown]
	v_fmac_f16_e32 v69, 0xb8b4, v122
	v_add_f16_e32 v88, v88, v93
	v_add_f16_e32 v93, v130, v117
	v_fmac_f16_e32 v5, -0.5, v92
	v_fmac_f16_e32 v72, 0xbb9c, v132
	v_add_f16_e32 v122, v1, v186
	v_add_f16_e32 v106, v183, v184
	;; [unrolled: 1-line block ×4, first 2 shown]
	v_fma_f16 v99, -0.5, v150, v3
	v_add_f16_e32 v94, v94, v108
	v_add_f16_e32 v108, v95, v160
	v_fmac_f16_e32 v104, 0xb8b4, v135
	v_fmac_f16_e32 v98, 0x38b4, v135
	v_fmac_f16_e32 v105, 0xb8b4, v96
	v_fmac_f16_e32 v9, 0x38b4, v96
	v_fmac_f16_e32 v85, 0x34f2, v110
	v_fmac_f16_e32 v69, 0x34f2, v110
	v_fmac_f16_e32 v83, 0x38b4, v133
	v_add_f16_e32 v95, v134, v151
	v_add_f16_e32 v92, v93, v118
	v_fmamk_f16 v93, v133, 0xbb9c, v5
	v_sub_f16_e32 v96, v116, v115
	v_sub_f16_e32 v110, v117, v118
	v_fmac_f16_e32 v72, 0xb8b4, v133
	v_add_f16_e32 v123, v188, v190
	v_fmac_f16_e32 v5, 0x3b9c, v133
	v_add_f16_e32 v122, v122, v188
	v_sub_f16_e32 v142, v161, v167
	v_sub_f16_e32 v143, v163, v165
	v_add_f16_e32 v149, v3, v161
	v_sub_f16_e32 v162, v161, v163
	v_sub_f16_e32 v164, v167, v165
	v_add_f16_e32 v166, v161, v167
	v_fma_f16 v73, -0.5, v141, v66
	v_fmac_f16_e32 v66, -0.5, v146
	v_fmac_f16_e32 v91, 0x34f2, v106
	v_fmac_f16_e32 v7, 0x34f2, v106
	v_fmamk_f16 v106, v155, 0xbb9c, v99
	v_fmac_f16_e32 v99, 0x3b9c, v155
	v_fmac_f16_e32 v104, 0x34f2, v124
	;; [unrolled: 1-line block ×5, first 2 shown]
	v_add_f16_e32 v96, v96, v110
	v_fma_f16 v110, -0.5, v123, v1
	v_sub_f16_e32 v118, v115, v118
	v_fmac_f16_e32 v72, 0x34f2, v95
	v_fmac_f16_e32 v5, 0xb8b4, v132
	v_add_f16_e32 v95, v122, v190
	v_add_f16_e32 v122, v186, v192
	v_sub_f16_e32 v123, v116, v117
	v_sub_f16_e32 v117, v186, v188
	;; [unrolled: 1-line block ×3, first 2 shown]
	v_add_f16_e32 v97, v107, v157
	v_add_f16_e32 v107, v149, v163
	;; [unrolled: 1-line block ×3, first 2 shown]
	v_fmac_f16_e32 v3, -0.5, v166
	v_fmamk_f16 v86, v142, 0x3b9c, v73
	v_fmac_f16_e32 v73, 0xbb9c, v142
	v_fmamk_f16 v89, v143, 0xbb9c, v66
	v_fmac_f16_e32 v66, 0x3b9c, v143
	v_fmac_f16_e32 v106, 0xb8b4, v156
	;; [unrolled: 1-line block ×4, first 2 shown]
	v_fmamk_f16 v115, v118, 0xbb9c, v110
	v_fmac_f16_e32 v5, 0x34f2, v96
	v_fmac_f16_e32 v1, -0.5, v122
	v_add_f16_e32 v116, v95, v192
	v_add_f16_e32 v95, v117, v124
	v_fmac_f16_e32 v110, 0x3b9c, v118
	v_sub_f16_e32 v96, v188, v186
	v_sub_f16_e32 v122, v190, v192
	v_add_f16_e32 v124, v119, v120
	v_sub_f16_e32 v161, v163, v161
	v_sub_f16_e32 v168, v165, v167
	v_add_f16_e32 v126, v144, v145
	v_add_f16_e32 v127, v147, v148
	;; [unrolled: 1-line block ×3, first 2 shown]
	v_fmamk_f16 v107, v156, 0x3b9c, v3
	v_fmac_f16_e32 v3, 0xbb9c, v156
	v_fmac_f16_e32 v86, 0x38b4, v143
	;; [unrolled: 1-line block ×10, first 2 shown]
	v_fmamk_f16 v117, v123, 0x3b9c, v1
	v_fmac_f16_e32 v110, 0x38b4, v123
	v_add_f16_e32 v96, v96, v122
	v_add_f16_e32 v122, v70, v87
	v_fma_f16 v124, -0.5, v124, v70
	v_sub_f16_e32 v125, v111, v114
	v_fmac_f16_e32 v1, 0xbb9c, v123
	v_add_f16_e32 v128, v87, v121
	v_add_f16_e32 v129, v161, v168
	v_fmac_f16_e32 v107, 0xb8b4, v155
	v_fmac_f16_e32 v86, 0x34f2, v126
	v_fmac_f16_e32 v73, 0x34f2, v126
	v_fmac_f16_e32 v89, 0x34f2, v127
	v_fmac_f16_e32 v66, 0x34f2, v127
	v_fmac_f16_e32 v3, 0x38b4, v155
	v_fmac_f16_e32 v115, 0x34f2, v95
	v_fmac_f16_e32 v117, 0xb8b4, v118
	v_fmac_f16_e32 v110, 0x34f2, v95
	v_add_f16_e32 v95, v122, v119
	v_fmamk_f16 v122, v125, 0x3b9c, v124
	v_sub_f16_e32 v123, v112, v113
	v_sub_f16_e32 v126, v87, v119
	v_sub_f16_e32 v127, v121, v120
	v_fmac_f16_e32 v1, 0x38b4, v118
	v_fmac_f16_e32 v70, -0.5, v128
	v_fmac_f16_e32 v124, 0xbb9c, v125
	v_add_f16_e32 v128, v11, v111
	v_fmac_f16_e32 v107, 0x34f2, v129
	v_fmac_f16_e32 v3, 0x34f2, v129
	;; [unrolled: 1-line block ×4, first 2 shown]
	v_add_f16_e32 v118, v126, v127
	v_fmac_f16_e32 v1, 0x34f2, v96
	v_fmamk_f16 v96, v123, 0xbb9c, v70
	v_sub_f16_e32 v126, v119, v87
	v_sub_f16_e32 v127, v120, v121
	v_fmac_f16_e32 v124, 0xb8b4, v123
	v_add_f16_e32 v129, v112, v113
	v_fmac_f16_e32 v70, 0x3b9c, v123
	v_add_f16_e32 v123, v128, v112
	v_add_f16_e32 v95, v95, v120
	v_fmac_f16_e32 v122, 0x34f2, v118
	v_add_f16_e32 v126, v126, v127
	v_fma_f16 v127, -0.5, v129, v11
	v_sub_f16_e32 v87, v87, v121
	v_fmac_f16_e32 v124, 0x34f2, v118
	v_add_f16_e32 v118, v123, v113
	v_add_f16_e32 v123, v111, v114
	;; [unrolled: 1-line block ×3, first 2 shown]
	v_fmac_f16_e32 v96, 0x38b4, v125
	v_fmac_f16_e32 v70, 0xb8b4, v125
	v_fmamk_f16 v121, v87, 0xbb9c, v127
	v_sub_f16_e32 v119, v119, v120
	v_sub_f16_e32 v120, v111, v112
	;; [unrolled: 1-line block ×3, first 2 shown]
	v_fmac_f16_e32 v11, -0.5, v123
	v_fmac_f16_e32 v127, 0x3b9c, v87
	v_sub_f16_e32 v111, v112, v111
	v_sub_f16_e32 v112, v113, v114
	v_add_f16_e32 v113, v78, v77
	v_add_f16_e32 v118, v118, v114
	v_fmac_f16_e32 v121, 0xb8b4, v119
	v_add_f16_e32 v120, v120, v125
	v_fmamk_f16 v123, v119, 0x3b9c, v11
	v_fmac_f16_e32 v127, 0x38b4, v119
	v_add_f16_e32 v111, v111, v112
	v_add_f16_e32 v112, v68, v80
	v_fma_f16 v113, -0.5, v113, v68
	v_sub_f16_e32 v114, v100, v103
	v_fmac_f16_e32 v11, 0xbb9c, v119
	v_add_f16_e32 v128, v80, v79
	v_fmac_f16_e32 v96, 0x34f2, v126
	v_fmac_f16_e32 v70, 0x34f2, v126
	;; [unrolled: 1-line block ×5, first 2 shown]
	v_add_f16_e32 v112, v112, v78
	v_fmamk_f16 v119, v114, 0x3b9c, v113
	v_sub_f16_e32 v120, v101, v102
	v_sub_f16_e32 v125, v80, v78
	;; [unrolled: 1-line block ×3, first 2 shown]
	v_fmac_f16_e32 v11, 0x38b4, v87
	v_fmac_f16_e32 v68, -0.5, v128
	v_fmac_f16_e32 v113, 0xbb9c, v114
	v_add_f16_e32 v128, v6, v100
	v_fmac_f16_e32 v123, 0x34f2, v111
	v_add_f16_e32 v87, v112, v77
	;; [unrolled: 2-line block ×3, first 2 shown]
	v_fmac_f16_e32 v11, 0x34f2, v111
	v_fmamk_f16 v111, v120, 0xbb9c, v68
	v_sub_f16_e32 v125, v78, v80
	v_sub_f16_e32 v126, v77, v79
	v_fmac_f16_e32 v113, 0xb8b4, v120
	v_add_f16_e32 v129, v101, v102
	v_fmac_f16_e32 v68, 0x3b9c, v120
	v_add_f16_e32 v120, v128, v101
	v_add_f16_e32 v87, v87, v79
	v_fmac_f16_e32 v111, 0x38b4, v114
	v_add_f16_e32 v125, v125, v126
	v_fma_f16 v126, -0.5, v129, v6
	v_sub_f16_e32 v79, v80, v79
	v_fmac_f16_e32 v68, 0xb8b4, v114
	v_add_f16_e32 v80, v120, v102
	v_add_f16_e32 v114, v100, v103
	v_fmac_f16_e32 v119, 0x34f2, v112
	v_fmac_f16_e32 v113, 0x34f2, v112
	v_fmamk_f16 v112, v79, 0xbb9c, v126
	v_sub_f16_e32 v77, v78, v77
	v_sub_f16_e32 v78, v100, v101
	;; [unrolled: 1-line block ×3, first 2 shown]
	v_fmac_f16_e32 v6, -0.5, v114
	v_add_f16_e32 v114, v80, v103
	v_fmac_f16_e32 v126, 0x3b9c, v79
	v_sub_f16_e32 v80, v101, v100
	v_sub_f16_e32 v100, v102, v103
	v_add_f16_e32 v101, v81, v82
	v_fmac_f16_e32 v112, 0xb8b4, v77
	v_add_f16_e32 v78, v78, v120
	v_fmamk_f16 v120, v77, 0x3b9c, v6
	v_fmac_f16_e32 v126, 0x38b4, v77
	v_add_f16_e32 v80, v80, v100
	v_fmac_f16_e32 v6, 0xbb9c, v77
	v_fma_f16 v100, -0.5, v101, v67
	v_sub_f16_e32 v101, v64, v63
	v_fmac_f16_e32 v111, 0x34f2, v125
	v_fmac_f16_e32 v68, 0x34f2, v125
	v_fmac_f16_e32 v112, 0x34f2, v78
	v_fmac_f16_e32 v120, 0xb8b4, v79
	v_fmac_f16_e32 v126, 0x34f2, v78
	v_fmac_f16_e32 v6, 0x38b4, v79
	v_fmamk_f16 v78, v101, 0x3b9c, v100
	v_sub_f16_e32 v79, v65, v76
	v_sub_f16_e32 v102, v169, v81
	;; [unrolled: 1-line block ×3, first 2 shown]
	v_fmac_f16_e32 v100, 0xbb9c, v101
	v_add_f16_e32 v125, v169, v131
	v_add_f16_e32 v77, v67, v169
	v_fmac_f16_e32 v78, 0x38b4, v79
	v_add_f16_e32 v102, v102, v103
	v_fmac_f16_e32 v100, 0xb8b4, v79
	v_fmac_f16_e32 v67, -0.5, v125
	v_sub_f16_e32 v103, v81, v169
	v_sub_f16_e32 v125, v82, v131
	v_fmac_f16_e32 v78, 0x34f2, v102
	v_fmac_f16_e32 v100, 0x34f2, v102
	v_add_f16_e32 v102, v65, v76
	v_fmac_f16_e32 v120, 0x34f2, v80
	v_add_f16_e32 v103, v103, v125
	v_add_f16_e32 v125, v64, v63
	;; [unrolled: 1-line block ×3, first 2 shown]
	v_fmac_f16_e32 v6, 0x34f2, v80
	v_fmamk_f16 v80, v79, 0xbb9c, v67
	v_fmac_f16_e32 v67, 0x3b9c, v79
	v_add_f16_e32 v79, v2, v64
	v_fma_f16 v102, -0.5, v102, v2
	v_sub_f16_e32 v81, v81, v82
	v_fmac_f16_e32 v2, -0.5, v125
	v_add_f16_e32 v77, v77, v82
	v_sub_f16_e32 v128, v169, v131
	v_add_f16_e32 v79, v79, v65
	v_sub_f16_e32 v82, v64, v65
	v_fmamk_f16 v125, v81, 0x3b9c, v2
	v_sub_f16_e32 v64, v65, v64
	v_sub_f16_e32 v65, v76, v63
	v_fmac_f16_e32 v2, 0xbb9c, v81
	v_fmac_f16_e32 v80, 0x38b4, v101
	v_fmac_f16_e32 v125, 0xb8b4, v128
	v_fmac_f16_e32 v67, 0xb8b4, v101
	v_add_f16_e32 v64, v64, v65
	v_fmac_f16_e32 v2, 0x38b4, v128
	v_mov_b32_e32 v65, 1
	v_fmac_f16_e32 v80, 0x34f2, v103
	v_fmac_f16_e32 v67, 0x34f2, v103
	;; [unrolled: 1-line block ×4, first 2 shown]
	v_mov_b32_e32 v64, 0x302
	v_add_f16_e32 v79, v79, v76
	v_sub_f16_e32 v103, v63, v76
	v_lshlrev_b32_sdwa v10, v65, v10 dst_sel:DWORD dst_unused:UNUSED_PAD src0_sel:DWORD src1_sel:BYTE_0
	v_fmamk_f16 v101, v128, 0xbb9c, v102
	v_mul_u32_u24_sdwa v4, v4, v64 dst_sel:DWORD dst_unused:UNUSED_PAD src0_sel:WORD_0 src1_sel:DWORD
	v_fmac_f16_e32 v102, 0x3b9c, v128
	v_add_f16_e32 v76, v82, v103
	v_add_f16_e32 v103, v79, v63
	v_cndmask_b32_e64 v63, 0, 0x302, s0
	v_add3_u32 v4, 0, v4, v10
	v_lshl_add_u32 v10, v15, 1, 0
	v_lshlrev_b32_sdwa v15, v65, v18 dst_sel:DWORD dst_unused:UNUSED_PAD src0_sel:DWORD src1_sel:WORD_0
	v_fmac_f16_e32 v101, 0xb8b4, v81
	v_add3_u32 v0, 0, v63, v0
	v_fmac_f16_e32 v102, 0x38b4, v81
	ds_write_b16 v54, v75
	ds_write_b16 v54, v62 offset:154
	v_add3_u32 v14, 0, v14, v15
	v_mul_u32_u24_e32 v15, 0x302, v16
	v_lshlrev_b32_sdwa v16, v65, v17 dst_sel:DWORD dst_unused:UNUSED_PAD src0_sel:DWORD src1_sel:WORD_0
	ds_write_b16 v54, v61 offset:308
	ds_write_b16 v54, v71 offset:462
	;; [unrolled: 1-line block ×3, first 2 shown]
	ds_write_b16 v0, v94
	ds_write_b16 v0, v84 offset:154
	ds_write_b16 v0, v85 offset:308
	;; [unrolled: 1-line block ×4, first 2 shown]
	ds_write_b16 v4, v88
	ds_write_b16 v4, v86 offset:154
	ds_write_b16 v4, v89 offset:308
	;; [unrolled: 1-line block ×9, first 2 shown]
	ds_write_b16 v14, v95
	v_add3_u32 v5, 0, v15, v16
	v_add_f16_e32 v77, v77, v131
	v_lshl_add_u32 v15, v19, 1, 0
	v_fmac_f16_e32 v101, 0x34f2, v76
	v_fmac_f16_e32 v102, 0x34f2, v76
	ds_write_b16 v14, v122 offset:154
	ds_write_b16 v14, v96 offset:308
	ds_write_b16 v14, v70 offset:462
	ds_write_b16 v14, v124 offset:616
	ds_write_b16 v5, v87
	ds_write_b16 v5, v119 offset:154
	ds_write_b16 v5, v111 offset:308
	;; [unrolled: 1-line block ×9, first 2 shown]
	s_waitcnt lgkmcnt(0)
	s_barrier
	buffer_gl0_inv
	ds_read_u16 v66, v54 offset:3190
	ds_read_u16 v65, v55
	ds_read_u16 v69, v56
	;; [unrolled: 1-line block ×3, first 2 shown]
	ds_read_u16 v61, v54 offset:1540
	ds_read_u16 v67, v54 offset:1650
	;; [unrolled: 1-line block ×17, first 2 shown]
	ds_read_u16 v60, v54
	ds_read_u16 v62, v54 offset:770
	ds_read_u16 v70, v54 offset:880
	;; [unrolled: 1-line block ×11, first 2 shown]
	ds_read_u16 v76, v58
	ds_read_u16 v96, v54 offset:3740
	v_add_f16_e32 v109, v109, v167
	s_waitcnt lgkmcnt(0)
	s_barrier
	buffer_gl0_inv
	ds_write_b16 v54, v97
	ds_write_b16 v54, v90 offset:154
	ds_write_b16 v54, v91 offset:308
	ds_write_b16 v54, v7 offset:462
	ds_write_b16 v54, v22 offset:616
	ds_write_b16 v0, v108
	ds_write_b16 v0, v104 offset:154
	ds_write_b16 v0, v105 offset:308
	ds_write_b16 v0, v9 offset:462
	ds_write_b16 v0, v98 offset:616
	;; [unrolled: 5-line block ×3, first 2 shown]
	ds_write_b16 v10, v116 offset:1540
	ds_write_b16 v10, v115 offset:1694
	;; [unrolled: 1-line block ×5, first 2 shown]
	ds_write_b16 v14, v118
	ds_write_b16 v14, v121 offset:154
	ds_write_b16 v14, v123 offset:308
	;; [unrolled: 1-line block ×4, first 2 shown]
	ds_write_b16 v5, v114
	ds_write_b16 v5, v112 offset:154
	ds_write_b16 v5, v120 offset:308
	;; [unrolled: 1-line block ×9, first 2 shown]
	s_waitcnt lgkmcnt(0)
	s_barrier
	buffer_gl0_inv
	s_and_saveexec_b32 s0, vcc_lo
	s_cbranch_execz .LBB0_23
; %bb.22:
	v_lshlrev_b32_e32 v22, 2, v26
	v_lshlrev_b64 v[0:1], 2, v[22:23]
	v_lshlrev_b32_e32 v22, 2, v31
	v_add_co_u32 v0, vcc_lo, s8, v0
	v_add_co_ci_u32_e32 v1, vcc_lo, s9, v1, vcc_lo
	global_load_dwordx4 v[4:7], v[0:1], off offset:1512
	v_lshlrev_b64 v[0:1], 2, v[22:23]
	v_lshlrev_b32_e32 v22, 2, v8
	v_lshlrev_b64 v[8:9], 2, v[22:23]
	v_lshlrev_b32_e32 v22, 2, v13
	v_add_co_u32 v0, vcc_lo, s8, v0
	v_add_co_ci_u32_e32 v1, vcc_lo, s9, v1, vcc_lo
	v_lshlrev_b64 v[13:14], 2, v[22:23]
	v_add_co_u32 v8, vcc_lo, s8, v8
	global_load_dwordx4 v[0:3], v[0:1], off offset:1512
	v_add_co_ci_u32_e32 v9, vcc_lo, s9, v9, vcc_lo
	v_add_co_u32 v13, vcc_lo, s8, v13
	v_add_co_ci_u32_e32 v14, vcc_lo, s9, v14, vcc_lo
	global_load_dwordx4 v[8:11], v[8:9], off offset:1512
	v_lshlrev_b32_e32 v22, 2, v12
	global_load_dwordx4 v[16:19], v[13:14], off offset:1512
	v_lshlrev_b64 v[12:13], 2, v[22:23]
	v_lshlrev_b32_e32 v22, 2, v53
	v_add_co_u32 v12, vcc_lo, s8, v12
	v_add_co_ci_u32_e32 v13, vcc_lo, s9, v13, vcc_lo
	v_lshlrev_b64 v[22:23], 2, v[22:23]
	global_load_dwordx4 v[12:15], v[12:13], off offset:1512
	ds_read_u16 v91, v54 offset:2200
	ds_read_u16 v90, v54 offset:3190
	;; [unrolled: 1-line block ×7, first 2 shown]
	ds_read_u16 v58, v58
	ds_read_u16 v57, v57
	ds_read_u16 v109, v54 offset:3740
	ds_read_u16 v110, v54 offset:3630
	;; [unrolled: 1-line block ×5, first 2 shown]
	ds_read_u16 v114, v56
	ds_read_u16 v53, v54 offset:1430
	ds_read_u16 v56, v54 offset:1320
	;; [unrolled: 1-line block ×7, first 2 shown]
	v_add_co_u32 v22, vcc_lo, s8, v22
	v_add_co_ci_u32_e32 v23, vcc_lo, s9, v23, vcc_lo
	ds_read_u16 v120, v54 offset:2090
	ds_read_u16 v121, v54 offset:1980
	;; [unrolled: 1-line block ×5, first 2 shown]
	global_load_dwordx4 v[98:101], v[24:25], off offset:1512
	ds_read_u16 v132, v54 offset:2750
	ds_read_u16 v138, v54 offset:2640
	;; [unrolled: 1-line block ×3, first 2 shown]
	global_load_dwordx4 v[102:105], v[22:23], off offset:1512
	s_waitcnt vmcnt(6)
	v_lshrrev_b32_e32 v24, 16, v4
	v_lshrrev_b32_e32 v25, 16, v5
	;; [unrolled: 1-line block ×4, first 2 shown]
	s_waitcnt lgkmcnt(14)
	v_mul_f16_e32 v127, v4, v53
	v_mul_f16_e32 v128, v5, v91
	;; [unrolled: 1-line block ×5, first 2 shown]
	v_fmac_f16_e32 v127, v93, v24
	v_fmac_f16_e32 v128, v94, v25
	;; [unrolled: 1-line block ×4, first 2 shown]
	v_mul_f16_e32 v23, v125, v106
	v_mul_f16_e32 v24, v24, v53
	;; [unrolled: 1-line block ×3, first 2 shown]
	s_waitcnt vmcnt(5)
	v_lshrrev_b32_e32 v53, 16, v0
	v_lshrrev_b32_e32 v91, 16, v1
	;; [unrolled: 1-line block ×4, first 2 shown]
	s_waitcnt lgkmcnt(13)
	v_mul_f16_e32 v125, v0, v56
	s_waitcnt lgkmcnt(7)
	v_mul_f16_e32 v126, v1, v120
	v_mul_f16_e32 v131, v3, v110
	;; [unrolled: 1-line block ×3, first 2 shown]
	v_sub_f16_e32 v134, v127, v128
	v_fma_f16 v22, v94, v5, -v22
	v_fma_f16 v94, v95, v6, -v23
	v_fma_f16 v6, v93, v4, -v24
	v_fma_f16 v93, v96, v7, -v25
	v_add_f16_e32 v4, v128, v130
	v_sub_f16_e32 v95, v127, v129
	v_sub_f16_e32 v7, v128, v127
	;; [unrolled: 1-line block ×3, first 2 shown]
	v_add_f16_e32 v24, v127, v129
	v_add_f16_e32 v25, v127, v108
	v_fmac_f16_e32 v125, v92, v53
	v_fmac_f16_e32 v126, v87, v91
	v_fmac_f16_e32 v131, v89, v109
	v_fmac_f16_e32 v133, v88, v106
	v_mul_f16_e32 v91, v91, v120
	v_mul_f16_e32 v106, v106, v107
	;; [unrolled: 1-line block ×4, first 2 shown]
	s_waitcnt vmcnt(4)
	v_lshrrev_b32_e32 v107, 16, v8
	v_lshrrev_b32_e32 v109, 16, v9
	;; [unrolled: 1-line block ×4, first 2 shown]
	v_mul_f16_e32 v127, v8, v115
	s_waitcnt lgkmcnt(6)
	v_mul_f16_e32 v136, v9, v121
	v_mul_f16_e32 v137, v11, v111
	s_waitcnt lgkmcnt(2)
	v_mul_f16_e32 v139, v10, v132
	v_sub_f16_e32 v135, v129, v130
	v_sub_f16_e32 v96, v128, v130
	;; [unrolled: 1-line block ×3, first 2 shown]
	v_fma_f16 v5, -0.5, v4, v108
	v_sub_f16_e32 v141, v6, v22
	v_sub_f16_e32 v142, v93, v94
	v_add_f16_e32 v143, v22, v94
	v_add_f16_e32 v144, v7, v23
	v_fma_f16 v4, -0.5, v24, v108
	v_sub_f16_e32 v7, v22, v6
	v_sub_f16_e32 v23, v94, v93
	v_add_f16_e32 v24, v6, v93
	v_add_f16_e32 v25, v128, v25
	;; [unrolled: 1-line block ×3, first 2 shown]
	v_sub_f16_e32 v108, v125, v126
	v_sub_f16_e32 v128, v131, v133
	v_fma_f16 v87, v87, v1, -v91
	v_fma_f16 v88, v88, v2, -v106
	;; [unrolled: 1-line block ×4, first 2 shown]
	v_add_f16_e32 v56, v126, v133
	v_sub_f16_e32 v91, v125, v131
	v_sub_f16_e32 v106, v126, v125
	;; [unrolled: 1-line block ×3, first 2 shown]
	v_add_f16_e32 v146, v125, v131
	v_add_f16_e32 v125, v125, v59
	v_fmac_f16_e32 v127, v85, v107
	v_fmac_f16_e32 v136, v82, v109
	;; [unrolled: 1-line block ×4, first 2 shown]
	v_mul_f16_e32 v109, v109, v121
	v_mul_f16_e32 v110, v110, v132
	;; [unrolled: 1-line block ×4, first 2 shown]
	s_waitcnt vmcnt(3)
	v_lshrrev_b32_e32 v115, 16, v16
	v_lshrrev_b32_e32 v120, 16, v17
	;; [unrolled: 1-line block ×4, first 2 shown]
	v_mul_f16_e32 v147, v17, v122
	v_mul_f16_e32 v148, v16, v116
	v_add_f16_e32 v134, v134, v135
	v_sub_f16_e32 v135, v22, v94
	v_sub_f16_e32 v92, v126, v133
	s_waitcnt lgkmcnt(1)
	v_mul_f16_e32 v150, v18, v138
	v_mul_f16_e32 v151, v19, v112
	v_fmamk_f16 v0, v140, 0x3b9c, v5
	v_add_f16_e32 v141, v141, v142
	v_fma_f16 v3, -0.5, v143, v86
	v_add_f16_e32 v142, v7, v23
	v_fma_f16 v2, -0.5, v24, v86
	v_add_f16_e32 v24, v130, v25
	v_add_f16_e32 v25, v6, v22
	v_fmac_f16_e32 v5, 0xbb9c, v140
	v_add_f16_e32 v86, v108, v128
	v_sub_f16_e32 v128, v53, v89
	v_fma_f16 v23, -0.5, v56, v59
	v_sub_f16_e32 v56, v53, v87
	v_sub_f16_e32 v130, v89, v88
	v_add_f16_e32 v143, v87, v88
	v_add_f16_e32 v106, v106, v145
	v_fma_f16 v22, -0.5, v146, v59
	v_sub_f16_e32 v59, v87, v53
	v_sub_f16_e32 v145, v88, v89
	v_add_f16_e32 v146, v53, v89
	v_add_f16_e32 v125, v126, v125
	;; [unrolled: 1-line block ×3, first 2 shown]
	v_sub_f16_e32 v126, v127, v136
	v_sub_f16_e32 v152, v137, v139
	v_fma_f16 v82, v82, v9, -v109
	v_fma_f16 v83, v83, v10, -v110
	;; [unrolled: 1-line block ×4, first 2 shown]
	v_add_f16_e32 v84, v136, v139
	v_sub_f16_e32 v107, v127, v137
	v_sub_f16_e32 v110, v136, v127
	v_add_f16_e32 v153, v127, v137
	v_add_f16_e32 v127, v127, v58
	v_fmac_f16_e32 v147, v77, v120
	v_fmac_f16_e32 v148, v80, v115
	v_mul_f16_e32 v115, v115, v116
	v_mul_f16_e32 v112, v132, v112
	;; [unrolled: 1-line block ×4, first 2 shown]
	v_sub_f16_e32 v108, v87, v88
	v_sub_f16_e32 v109, v136, v139
	v_sub_f16_e32 v111, v139, v137
	v_fmac_f16_e32 v150, v78, v121
	v_fmac_f16_e32 v151, v79, v132
	;; [unrolled: 1-line block ×3, first 2 shown]
	v_add_f16_e32 v8, v129, v24
	v_add_f16_e32 v94, v25, v94
	v_fmac_f16_e32 v5, 0xb8b4, v135
	v_add_f16_e32 v129, v56, v130
	v_fma_f16 v25, -0.5, v143, v81
	v_add_f16_e32 v130, v59, v145
	v_fma_f16 v24, -0.5, v146, v81
	v_add_f16_e32 v59, v133, v125
	v_add_f16_e32 v81, v53, v87
	;; [unrolled: 1-line block ×3, first 2 shown]
	v_sub_f16_e32 v126, v10, v85
	v_fma_f16 v56, -0.5, v84, v58
	v_sub_f16_e32 v84, v10, v82
	v_sub_f16_e32 v133, v85, v83
	v_add_f16_e32 v127, v136, v127
	v_add_f16_e32 v136, v76, v10
	v_fma_f16 v80, v80, v16, -v115
	v_fma_f16 v112, v79, v19, -v112
	;; [unrolled: 1-line block ×4, first 2 shown]
	v_fmamk_f16 v1, v135, 0xbb9c, v4
	v_fmac_f16_e32 v4, 0x3b9c, v135
	v_fmamk_f16 v6, v95, 0xbb9c, v3
	v_fmac_f16_e32 v3, 0x3b9c, v95
	v_sub_f16_e32 v125, v82, v83
	v_add_f16_e32 v135, v82, v83
	v_add_f16_e32 v110, v110, v111
	v_sub_f16_e32 v111, v82, v10
	v_add_f16_e32 v143, v10, v85
	v_add_f16_e32 v79, v148, v151
	v_add_f16_e32 v157, v147, v150
	v_fmac_f16_e32 v0, 0x34f2, v134
	v_add_f16_e32 v10, v93, v94
	v_fmac_f16_e32 v5, 0x34f2, v134
	v_add_f16_e32 v18, v131, v59
	v_add_f16_e32 v59, v81, v88
	v_fmamk_f16 v19, v126, 0x3b9c, v56
	v_add_f16_e32 v93, v84, v133
	v_fmac_f16_e32 v56, 0xbb9c, v126
	v_add_f16_e32 v84, v139, v127
	v_add_f16_e32 v82, v136, v82
	;; [unrolled: 1-line block ×4, first 2 shown]
	v_fmac_f16_e32 v1, 0x38b4, v140
	v_fmamk_f16 v7, v96, 0x3b9c, v2
	v_fmac_f16_e32 v4, 0xb8b4, v140
	v_fmac_f16_e32 v2, 0xbb9c, v96
	v_fmamk_f16 v11, v108, 0xbb9c, v22
	v_fmac_f16_e32 v22, 0x3b9c, v108
	v_fma_f16 v53, -0.5, v153, v58
	v_sub_f16_e32 v140, v83, v85
	v_sub_f16_e32 v145, v147, v148
	;; [unrolled: 1-line block ×6, first 2 shown]
	v_add_f16_e32 v148, v148, v57
	v_fmac_f16_e32 v6, 0xb8b4, v96
	v_fmac_f16_e32 v3, 0x38b4, v96
	v_fma_f16 v78, -0.5, v135, v76
	v_fma_f16 v76, -0.5, v143, v76
	v_sub_f16_e32 v96, v80, v112
	v_fma_f16 v81, -0.5, v79, v57
	v_sub_f16_e32 v88, v115, v80
	;; [unrolled: 2-line block ×3, first 2 shown]
	v_add_f16_e32 v136, v75, v80
	v_add_f16_e32 v57, v89, v59
	v_fmac_f16_e32 v19, 0x38b4, v125
	v_fmac_f16_e32 v56, 0xb8b4, v125
	v_add_f16_e32 v80, v137, v84
	v_add_f16_e32 v89, v82, v83
	v_fma_f16 v84, -0.5, v127, v75
	v_fma_f16 v82, -0.5, v134, v75
	v_fmamk_f16 v9, v128, 0x3b9c, v23
	v_fmac_f16_e32 v23, 0xbb9c, v128
	v_fmamk_f16 v16, v91, 0xbb9c, v25
	v_fmac_f16_e32 v11, 0x38b4, v128
	;; [unrolled: 2-line block ×3, first 2 shown]
	v_fmac_f16_e32 v24, 0xbb9c, v92
	v_fmac_f16_e32 v25, 0x3b9c, v91
	v_add_f16_e32 v94, v111, v140
	v_sub_f16_e32 v111, v116, v112
	v_add_f16_e32 v128, v77, v153
	v_sub_f16_e32 v133, v112, v116
	v_fmamk_f16 v77, v109, 0x3b9c, v76
	v_fmac_f16_e32 v76, 0xbb9c, v109
	v_fmac_f16_e32 v19, 0x34f2, v87
	;; [unrolled: 1-line block ×3, first 2 shown]
	v_add_f16_e32 v75, v85, v89
	v_fmamk_f16 v85, v120, 0x3b9c, v84
	v_fmamk_f16 v87, v152, 0x3b9c, v82
	v_fmac_f16_e32 v84, 0xbb9c, v120
	v_fmac_f16_e32 v82, 0xbb9c, v152
	s_waitcnt vmcnt(2)
	v_lshrrev_b32_e32 v122, 16, v13
	v_lshrrev_b32_e32 v132, 16, v14
	v_fmac_f16_e32 v9, 0x38b4, v108
	v_fmac_f16_e32 v23, 0xb8b4, v108
	v_sub_f16_e32 v108, v115, v116
	v_fmac_f16_e32 v16, 0xb8b4, v92
	v_fmac_f16_e32 v17, 0xb8b4, v91
	;; [unrolled: 1-line block ×4, first 2 shown]
	v_fmamk_f16 v59, v107, 0xbb9c, v78
	v_fmac_f16_e32 v78, 0x3b9c, v107
	v_add_f16_e32 v91, v88, v111
	v_add_f16_e32 v92, v131, v133
	v_fmac_f16_e32 v77, 0xb8b4, v107
	v_fmac_f16_e32 v76, 0x38b4, v107
	;; [unrolled: 1-line block ×6, first 2 shown]
	v_sub_f16_e32 v146, v150, v151
	v_fmamk_f16 v83, v108, 0xbb9c, v81
	v_fmac_f16_e32 v81, 0x3b9c, v108
	v_fmac_f16_e32 v59, 0xb8b4, v109
	v_fmac_f16_e32 v78, 0x38b4, v109
	v_fmac_f16_e32 v77, 0x34f2, v94
	v_fmac_f16_e32 v76, 0x34f2, v94
	v_fmac_f16_e32 v85, 0x34f2, v91
	v_fmac_f16_e32 v87, 0x34f2, v92
	v_fmac_f16_e32 v84, 0x34f2, v91
	v_fmac_f16_e32 v82, 0x34f2, v92
	ds_read_u16 v92, v54 offset:2420
	v_mul_f16_e32 v91, v122, v123
	s_waitcnt lgkmcnt(1)
	v_mul_f16_e32 v94, v132, v149
	v_lshrrev_b32_e32 v121, 16, v12
	v_lshrrev_b32_e32 v138, 16, v15
	v_mul_f16_e32 v154, v12, v117
	v_mul_f16_e32 v155, v13, v123
	;; [unrolled: 1-line block ×3, first 2 shown]
	v_fmac_f16_e32 v7, 0xb8b4, v95
	v_fmac_f16_e32 v2, 0x38b4, v95
	v_add_f16_e32 v95, v145, v146
	v_fmac_f16_e32 v83, 0x38b4, v96
	v_fmac_f16_e32 v81, 0xb8b4, v96
	;; [unrolled: 1-line block ×4, first 2 shown]
	v_mul_f16_e32 v93, v14, v149
	v_fma_f16 v13, v71, v13, -v91
	v_fma_f16 v94, v72, v14, -v94
	v_fmac_f16_e32 v154, v74, v121
	v_fmac_f16_e32 v155, v71, v122
	;; [unrolled: 1-line block ×5, first 2 shown]
	v_fmamk_f16 v86, v96, 0xbb9c, v79
	v_fmac_f16_e32 v79, 0x3b9c, v96
	v_fmac_f16_e32 v83, 0x34f2, v95
	;; [unrolled: 1-line block ×3, first 2 shown]
	v_mul_f16_e32 v95, v121, v117
	v_mul_f16_e32 v96, v138, v113
	v_fmac_f16_e32 v93, v72, v132
	v_add_f16_e32 v72, v13, v94
	v_fmac_f16_e32 v11, 0x34f2, v106
	v_fmac_f16_e32 v22, 0x34f2, v106
	v_add_f16_e32 v106, v115, v136
	v_fma_f16 v12, v74, v12, -v95
	v_fma_f16 v95, v73, v15, -v96
	v_sub_f16_e32 v14, v154, v155
	v_sub_f16_e32 v71, v156, v93
	v_fma_f16 v91, -0.5, v72, v69
	v_add_f16_e32 v72, v154, v156
	v_fmamk_f16 v58, v125, 0xbb9c, v53
	v_fmac_f16_e32 v53, 0x3b9c, v125
	v_add_f16_e32 v89, v106, v116
	v_add_f16_e32 v15, v155, v93
	ds_read_u16 v106, v55
	v_add_f16_e32 v107, v14, v71
	v_sub_f16_e32 v109, v13, v94
	v_sub_f16_e32 v55, v12, v13
	;; [unrolled: 1-line block ×3, first 2 shown]
	v_fma_f16 v72, -0.5, v72, v114
	v_fmac_f16_e32 v58, 0x38b4, v126
	v_fmac_f16_e32 v53, 0xb8b4, v126
	;; [unrolled: 1-line block ×4, first 2 shown]
	v_sub_f16_e32 v96, v12, v95
	v_fma_f16 v74, -0.5, v15, v114
	v_sub_f16_e32 v108, v154, v156
	v_add_f16_e32 v73, v12, v95
	v_add_f16_e32 v111, v55, v71
	v_fmamk_f16 v55, v109, 0xbb9c, v72
	v_fmac_f16_e32 v72, 0x3b9c, v109
	v_add_f16_e32 v114, v154, v114
	v_fmac_f16_e32 v58, 0x34f2, v110
	v_fmac_f16_e32 v53, 0x34f2, v110
	v_add_f16_e32 v89, v89, v112
	v_fmamk_f16 v14, v96, 0x3b9c, v74
	v_fmamk_f16 v15, v108, 0xbb9c, v91
	v_sub_f16_e32 v110, v155, v93
	v_sub_f16_e32 v112, v155, v154
	v_fma_f16 v73, -0.5, v73, v69
	v_sub_f16_e32 v113, v93, v156
	v_sub_f16_e32 v115, v13, v12
	v_fmac_f16_e32 v55, 0x38b4, v96
	v_fmac_f16_e32 v72, 0xb8b4, v96
	;; [unrolled: 1-line block ×4, first 2 shown]
	v_add_f16_e32 v96, v155, v114
	v_add_f16_e32 v12, v69, v12
	v_fmac_f16_e32 v14, 0x38b4, v109
	v_fmac_f16_e32 v15, 0xb8b4, v110
	v_fmamk_f16 v71, v110, 0x3b9c, v73
	v_add_f16_e32 v112, v112, v113
	v_fmac_f16_e32 v73, 0xbb9c, v110
	v_fmac_f16_e32 v74, 0xb8b4, v109
	;; [unrolled: 1-line block ×3, first 2 shown]
	v_add_f16_e32 v69, v93, v96
	v_add_f16_e32 v12, v12, v13
	v_sub_f16_e32 v116, v94, v95
	v_fmac_f16_e32 v71, 0xb8b4, v108
	v_fmac_f16_e32 v14, 0x34f2, v107
	v_fmac_f16_e32 v15, 0x34f2, v111
	v_fmac_f16_e32 v55, 0x34f2, v112
	v_fmac_f16_e32 v72, 0x34f2, v112
	v_fmac_f16_e32 v73, 0x38b4, v108
	v_fmac_f16_e32 v74, 0x34f2, v107
	ds_read_u16 v107, v54 offset:1540
	v_fmac_f16_e32 v91, 0x34f2, v111
	v_add_f16_e32 v93, v156, v69
	v_add_f16_e32 v12, v12, v94
	s_waitcnt vmcnt(0)
	v_lshrrev_b32_e32 v13, 16, v102
	v_lshrrev_b32_e32 v69, 16, v103
	ds_read_u16 v94, v54 offset:770
	v_mul_f16_e32 v96, v102, v118
	v_mul_f16_e32 v108, v103, v124
	v_lshrrev_b32_e32 v109, 16, v104
	v_lshrrev_b32_e32 v110, 16, v105
	s_waitcnt lgkmcnt(3)
	v_mul_f16_e32 v111, v104, v92
	v_mul_f16_e32 v112, v105, v90
	v_fmac_f16_e32 v96, v70, v13
	v_fmac_f16_e32 v108, v67, v69
	v_mul_f16_e32 v13, v13, v118
	v_mul_f16_e32 v90, v110, v90
	v_fmac_f16_e32 v111, v68, v109
	v_mul_f16_e32 v69, v69, v124
	v_mul_f16_e32 v92, v109, v92
	v_fmac_f16_e32 v112, v66, v110
	v_fma_f16 v13, v70, v102, -v13
	v_fma_f16 v70, v66, v105, -v90
	;; [unrolled: 1-line block ×4, first 2 shown]
	v_sub_f16_e32 v69, v96, v108
	v_sub_f16_e32 v102, v112, v111
	v_add_f16_e32 v90, v108, v111
	v_sub_f16_e32 v66, v13, v70
	v_sub_f16_e32 v105, v70, v68
	v_add_f16_e32 v110, v96, v112
	v_add_f16_e32 v69, v69, v102
	v_sub_f16_e32 v102, v13, v67
	v_add_f16_e32 v114, v13, v70
	v_sub_f16_e32 v117, v67, v13
	v_add_f16_e32 v13, v65, v13
	v_add_f16_e32 v113, v115, v116
	s_waitcnt lgkmcnt(2)
	v_fma_f16 v90, -0.5, v90, v106
	v_add_f16_e32 v92, v67, v68
	v_add_f16_e32 v95, v95, v12
	v_sub_f16_e32 v12, v96, v112
	v_add_f16_e32 v102, v102, v105
	v_fma_f16 v105, -0.5, v110, v106
	v_sub_f16_e32 v110, v108, v96
	v_add_f16_e32 v96, v96, v106
	v_add_f16_e32 v13, v13, v67
	v_fmac_f16_e32 v71, 0x34f2, v113
	v_fmac_f16_e32 v73, 0x34f2, v113
	v_sub_f16_e32 v103, v67, v68
	v_fmamk_f16 v104, v66, 0x3b9c, v90
	v_fma_f16 v92, -0.5, v92, v65
	v_sub_f16_e32 v113, v108, v111
	v_fma_f16 v114, -0.5, v114, v65
	v_add_f16_e32 v65, v108, v96
	v_fmac_f16_e32 v90, 0xbb9c, v66
	v_add_f16_e32 v13, v13, v68
	v_fmac_f16_e32 v104, 0x38b4, v103
	v_fmamk_f16 v116, v103, 0xbb9c, v105
	v_sub_f16_e32 v118, v68, v70
	v_fmamk_f16 v120, v113, 0x3b9c, v114
	v_fmac_f16_e32 v105, 0x3b9c, v103
	v_fmac_f16_e32 v114, 0xbb9c, v113
	v_add_f16_e32 v65, v111, v65
	v_fmac_f16_e32 v90, 0xb8b4, v103
	v_add_f16_e32 v70, v70, v13
	ds_read_u16 v13, v54
	v_fmamk_f16 v109, v12, 0xbb9c, v92
	v_fmac_f16_e32 v104, 0x34f2, v69
	v_fmac_f16_e32 v116, 0x38b4, v66
	;; [unrolled: 1-line block ×6, first 2 shown]
	v_add_f16_e32 v96, v112, v65
	v_fmac_f16_e32 v90, 0x34f2, v69
	v_lshrrev_b32_e32 v12, 16, v98
	s_waitcnt lgkmcnt(1)
	v_mul_f16_e32 v54, v98, v94
	v_lshrrev_b32_e32 v65, 16, v99
	v_mul_f16_e32 v66, v99, v107
	v_lshrrev_b32_e32 v67, 16, v100
	;; [unrolled: 2-line block ×3, first 2 shown]
	v_mul_f16_e32 v103, v101, v97
	v_fmac_f16_e32 v54, v62, v12
	v_fmac_f16_e32 v66, v61, v65
	v_mul_f16_e32 v12, v12, v94
	v_fmac_f16_e32 v69, v63, v67
	v_fmac_f16_e32 v109, 0xb8b4, v113
	;; [unrolled: 1-line block ×3, first 2 shown]
	v_mul_f16_e32 v65, v65, v107
	v_mul_f16_e32 v67, v67, v119
	v_fmac_f16_e32 v103, v64, v68
	v_mul_f16_e32 v94, v68, v97
	v_fma_f16 v12, v62, v98, -v12
	v_add_f16_e32 v62, v66, v69
	v_sub_f16_e32 v115, v111, v112
	v_fmac_f16_e32 v109, 0x34f2, v102
	v_fma_f16 v65, v61, v99, -v65
	v_fma_f16 v67, v63, v100, -v67
	v_fmac_f16_e32 v92, 0x34f2, v102
	v_add_f16_e32 v102, v54, v103
	v_fma_f16 v94, v64, v101, -v94
	s_waitcnt lgkmcnt(0)
	v_fma_f16 v68, -0.5, v62, v13
	v_sub_f16_e32 v62, v54, v66
	v_sub_f16_e32 v64, v103, v69
	v_add_f16_e32 v110, v110, v115
	v_sub_f16_e32 v97, v65, v67
	v_fma_f16 v102, -0.5, v102, v13
	v_sub_f16_e32 v100, v94, v67
	v_add_f16_e32 v64, v62, v64
	v_sub_f16_e32 v62, v12, v65
	v_add_f16_e32 v107, v12, v94
	v_fmac_f16_e32 v116, 0x34f2, v110
	v_fmac_f16_e32 v105, 0x34f2, v110
	v_sub_f16_e32 v61, v12, v94
	v_add_f16_e32 v63, v65, v67
	v_fmamk_f16 v110, v97, 0xbb9c, v102
	v_fmac_f16_e32 v102, 0x3b9c, v97
	v_sub_f16_e32 v106, v66, v69
	v_add_f16_e32 v100, v62, v100
	v_sub_f16_e32 v62, v66, v54
	v_fma_f16 v107, -0.5, v107, v60
	v_sub_f16_e32 v108, v69, v103
	v_fmamk_f16 v98, v61, 0x3b9c, v68
	v_fma_f16 v99, -0.5, v63, v60
	v_sub_f16_e32 v111, v65, v12
	v_fmac_f16_e32 v110, 0x38b4, v61
	v_fmac_f16_e32 v102, 0xb8b4, v61
	;; [unrolled: 1-line block ×3, first 2 shown]
	v_add_f16_e32 v12, v60, v12
	v_mad_u64_u32 v[60:61], null, s2, v50, 0
	v_sub_f16_e32 v63, v54, v103
	v_fmamk_f16 v113, v106, 0x3b9c, v107
	v_add_f16_e32 v62, v62, v108
	v_fmac_f16_e32 v107, 0xbb9c, v106
	v_add_f16_e32 v13, v54, v13
	v_fmamk_f16 v101, v63, 0xbb9c, v99
	v_fmac_f16_e32 v113, 0xb8b4, v63
	v_fmac_f16_e32 v110, 0x34f2, v62
	;; [unrolled: 1-line block ×5, first 2 shown]
	v_mad_u64_u32 v[62:63], null, s2, v52, 0
	v_add_f16_e32 v13, v66, v13
	v_add_f16_e32 v54, v12, v65
	v_mov_b32_e32 v12, v61
	v_fmac_f16_e32 v98, 0x38b4, v97
	v_fmac_f16_e32 v68, 0xb8b4, v97
	v_add_f16_e32 v61, v69, v13
	v_add_f16_e32 v54, v54, v67
	v_mad_u64_u32 v[12:13], null, s3, v50, v[12:13]
	v_mov_b32_e32 v13, v63
	v_fmac_f16_e32 v98, 0x34f2, v64
	v_fmac_f16_e32 v68, 0x34f2, v64
	v_add_f16_e32 v66, v103, v61
	v_add_f16_e32 v54, v94, v54
	v_mad_u64_u32 v[63:64], null, s3, v52, v[13:14]
	v_mad_u64_u32 v[64:65], null, s2, v51, 0
	v_mov_b32_e32 v61, v12
	v_add_co_u32 v12, vcc_lo, s12, v20
	v_add_co_ci_u32_e32 v13, vcc_lo, s13, v21, vcc_lo
	v_lshlrev_b64 v[20:21], 2, v[60:61]
	v_mov_b32_e32 v50, v65
	v_mad_u64_u32 v[60:61], null, s2, v48, 0
	v_fmac_f16_e32 v99, 0x38b4, v106
	v_sub_f16_e32 v112, v67, v94
	v_pack_b32_f16 v54, v54, v66
	v_lshlrev_b64 v[62:63], 2, v[62:63]
	v_mad_u64_u32 v[50:51], null, s3, v51, v[50:51]
	v_mad_u64_u32 v[66:67], null, s2, v49, 0
	v_add_co_u32 v20, vcc_lo, v12, v20
	v_fmac_f16_e32 v99, 0x34f2, v100
	v_add_co_ci_u32_e32 v21, vcc_lo, v13, v21, vcc_lo
	v_mov_b32_e32 v51, v61
	v_add_co_u32 v61, vcc_lo, v12, v62
	v_add_co_ci_u32_e32 v62, vcc_lo, v13, v63, vcc_lo
	v_mad_u64_u32 v[51:52], null, s3, v48, v[51:52]
	v_pack_b32_f16 v48, v99, v68
	v_mov_b32_e32 v65, v50
	global_store_dword v[20:21], v54, off
	v_mov_b32_e32 v20, v67
	v_fmac_f16_e32 v101, 0xb8b4, v106
	global_store_dword v[61:62], v48, off
	v_lshlrev_b64 v[62:63], 2, v[64:65]
	v_mov_b32_e32 v61, v51
	v_mad_u64_u32 v[20:21], null, s3, v49, v[20:21]
	v_mad_u64_u32 v[48:49], null, s2, v45, 0
	v_add_co_u32 v50, vcc_lo, v12, v62
	v_add_co_ci_u32_e32 v51, vcc_lo, v13, v63, vcc_lo
	v_mov_b32_e32 v67, v20
	v_mad_u64_u32 v[62:63], null, s2, v47, 0
	v_mov_b32_e32 v20, v49
	v_lshlrev_b64 v[60:61], 2, v[60:61]
	v_add_f16_e32 v108, v111, v112
	v_lshlrev_b64 v[64:65], 2, v[66:67]
	v_mad_u64_u32 v[66:67], null, s2, v46, 0
	v_mad_u64_u32 v[20:21], null, s3, v45, v[20:21]
	v_fmac_f16_e32 v101, 0x34f2, v100
	v_fmac_f16_e32 v107, 0x34f2, v108
	v_add_co_u32 v60, vcc_lo, v12, v60
	v_mov_b32_e32 v21, v63
	v_fmac_f16_e32 v113, 0x34f2, v108
	v_add_co_ci_u32_e32 v61, vcc_lo, v13, v61, vcc_lo
	v_add_co_u32 v63, vcc_lo, v12, v64
	v_pack_b32_f16 v52, v107, v102
	v_add_co_ci_u32_e32 v64, vcc_lo, v13, v65, vcc_lo
	v_mad_u64_u32 v[68:69], null, s3, v47, v[21:22]
	v_pack_b32_f16 v21, v101, v98
	v_mov_b32_e32 v49, v20
	v_mov_b32_e32 v20, v67
	v_pack_b32_f16 v54, v113, v110
	global_store_dword v[50:51], v52, off
	global_store_dword v[60:61], v54, off
	;; [unrolled: 1-line block ×3, first 2 shown]
	v_mad_u64_u32 v[20:21], null, s3, v46, v[20:21]
	v_mad_u64_u32 v[45:46], null, s2, v44, 0
	v_mov_b32_e32 v63, v68
	v_lshlrev_b64 v[47:48], 2, v[48:49]
	v_mad_u64_u32 v[51:52], null, s2, v43, 0
	v_mov_b32_e32 v67, v20
	v_lshlrev_b64 v[49:50], 2, v[62:63]
	v_mov_b32_e32 v20, v46
	v_add_f16_e32 v115, v117, v118
	v_add_co_u32 v47, vcc_lo, v12, v47
	v_lshlrev_b64 v[60:61], 2, v[66:67]
	v_mad_u64_u32 v[20:21], null, s3, v44, v[20:21]
	v_mad_u64_u32 v[62:63], null, s2, v41, 0
	v_add_co_ci_u32_e32 v48, vcc_lo, v13, v48, vcc_lo
	v_fmac_f16_e32 v114, 0x34f2, v115
	v_add_co_u32 v49, vcc_lo, v12, v49
	v_mov_b32_e32 v21, v52
	v_add_co_ci_u32_e32 v50, vcc_lo, v13, v50, vcc_lo
	v_add_co_u32 v60, vcc_lo, v12, v60
	v_pack_b32_f16 v54, v70, v96
	v_add_co_ci_u32_e32 v61, vcc_lo, v13, v61, vcc_lo
	v_mad_u64_u32 v[43:44], null, s3, v43, v[21:22]
	v_pack_b32_f16 v21, v114, v105
	v_mov_b32_e32 v46, v20
	v_mov_b32_e32 v20, v63
	v_pack_b32_f16 v64, v92, v90
	global_store_dword v[47:48], v54, off
	global_store_dword v[49:50], v64, off
	;; [unrolled: 1-line block ×3, first 2 shown]
	v_lshlrev_b64 v[44:45], 2, v[45:46]
	v_mad_u64_u32 v[20:21], null, s3, v41, v[20:21]
	v_mad_u64_u32 v[46:47], null, s2, v42, 0
	v_mov_b32_e32 v52, v43
	v_add_co_u32 v43, vcc_lo, v12, v44
	v_add_co_ci_u32_e32 v44, vcc_lo, v13, v45, vcc_lo
	v_lshlrev_b64 v[48:49], 2, v[51:52]
	v_mov_b32_e32 v63, v20
	v_mov_b32_e32 v20, v47
	v_mad_u64_u32 v[50:51], null, s2, v39, 0
	v_fmac_f16_e32 v120, 0x34f2, v115
	v_lshlrev_b64 v[60:61], 2, v[62:63]
	v_mad_u64_u32 v[20:21], null, s3, v42, v[20:21]
	v_mad_u64_u32 v[41:42], null, s2, v40, 0
	v_add_co_u32 v48, vcc_lo, v12, v48
	v_mov_b32_e32 v21, v51
	v_add_co_ci_u32_e32 v49, vcc_lo, v13, v49, vcc_lo
	v_add_co_u32 v51, vcc_lo, v12, v60
	v_pack_b32_f16 v45, v120, v116
	v_add_co_ci_u32_e32 v52, vcc_lo, v13, v61, vcc_lo
	v_mad_u64_u32 v[60:61], null, s3, v39, v[21:22]
	v_pack_b32_f16 v21, v95, v93
	v_mov_b32_e32 v47, v20
	v_mov_b32_e32 v20, v42
	v_pack_b32_f16 v54, v109, v104
	global_store_dword v[43:44], v45, off
	global_store_dword v[48:49], v54, off
	;; [unrolled: 1-line block ×3, first 2 shown]
	v_mad_u64_u32 v[20:21], null, s3, v40, v[20:21]
	v_mad_u64_u32 v[39:40], null, s2, v38, 0
	v_lshlrev_b64 v[42:43], 2, v[46:47]
	v_mov_b32_e32 v51, v60
	v_mad_u64_u32 v[48:49], null, s2, v35, 0
	v_pack_b32_f16 v54, v91, v74
	v_pack_b32_f16 v60, v73, v72
	v_add_co_u32 v44, vcc_lo, v12, v42
	v_mov_b32_e32 v42, v20
	v_mov_b32_e32 v20, v40
	v_lshlrev_b64 v[46:47], 2, v[50:51]
	v_add_co_ci_u32_e32 v45, vcc_lo, v13, v43, vcc_lo
	v_lshlrev_b64 v[40:41], 2, v[41:42]
	v_mad_u64_u32 v[20:21], null, s3, v38, v[20:21]
	v_mov_b32_e32 v21, v49
	v_mad_u64_u32 v[42:43], null, s2, v37, 0
	v_add_co_u32 v46, vcc_lo, v12, v46
	v_add_co_ci_u32_e32 v47, vcc_lo, v13, v47, vcc_lo
	v_add_co_u32 v49, vcc_lo, v12, v40
	v_mad_u64_u32 v[51:52], null, s3, v35, v[21:22]
	v_mov_b32_e32 v40, v20
	v_add_co_ci_u32_e32 v50, vcc_lo, v13, v41, vcc_lo
	v_pack_b32_f16 v21, v71, v55
	v_mov_b32_e32 v20, v43
	v_lshlrev_b64 v[38:39], 2, v[39:40]
	global_store_dword v[44:45], v54, off
	global_store_dword v[46:47], v60, off
	v_add_f16_e32 v135, v147, v148
	global_store_dword v[49:50], v21, off
	v_mov_b32_e32 v49, v51
	v_mad_u64_u32 v[20:21], null, s3, v37, v[20:21]
	v_add_co_u32 v37, vcc_lo, v12, v38
	v_add_co_ci_u32_e32 v38, vcc_lo, v13, v39, vcc_lo
	v_lshlrev_b64 v[39:40], 2, v[48:49]
	v_pack_b32_f16 v47, v15, v14
	v_mov_b32_e32 v43, v20
	v_mad_u64_u32 v[14:15], null, s2, v36, 0
	v_add_f16_e32 v88, v150, v135
	v_add_co_u32 v20, vcc_lo, v12, v39
	v_add_co_ci_u32_e32 v21, vcc_lo, v13, v40, vcc_lo
	v_lshlrev_b64 v[39:40], 2, v[42:43]
	v_mad_u64_u32 v[41:42], null, s2, v34, 0
	v_fmac_f16_e32 v16, 0x34f2, v129
	v_add_f16_e32 v88, v151, v88
	v_fmac_f16_e32 v86, 0x34f2, v128
	v_mad_u64_u32 v[43:44], null, s2, v33, 0
	v_mad_u64_u32 v[35:36], null, s3, v36, v[15:16]
	v_mov_b32_e32 v15, v42
	v_mul_hi_u32 v36, 0x551c979b, v32
	v_add_co_u32 v39, vcc_lo, v12, v39
	v_pack_b32_f16 v48, v89, v88
	v_add_co_ci_u32_e32 v40, vcc_lo, v13, v40, vcc_lo
	v_pack_b32_f16 v49, v87, v86
	v_mad_u64_u32 v[45:46], null, s3, v34, v[15:16]
	global_store_dword v[37:38], v47, off
	global_store_dword v[20:21], v48, off
	;; [unrolled: 1-line block ×3, first 2 shown]
	v_mov_b32_e32 v20, v44
	v_lshrrev_b32_e32 v34, 7, v36
	v_mov_b32_e32 v15, v35
	v_fmac_f16_e32 v79, 0x34f2, v128
	v_mov_b32_e32 v42, v45
	v_mad_u64_u32 v[20:21], null, s3, v33, v[20:21]
	v_mad_u32_u24 v45, 0x604, v34, v32
	v_lshlrev_b64 v[14:15], 2, v[14:15]
	v_lshlrev_b64 v[32:33], 2, v[41:42]
	v_pack_b32_f16 v46, v84, v81
	v_pack_b32_f16 v48, v85, v83
	v_mad_u64_u32 v[34:35], null, s2, v45, 0
	v_add_nc_u32_e32 v47, 0x181, v45
	v_mov_b32_e32 v44, v20
	v_add_co_u32 v14, vcc_lo, v12, v14
	v_add_nc_u32_e32 v49, 0x302, v45
	v_mad_u64_u32 v[37:38], null, s2, v47, 0
	v_add_co_ci_u32_e32 v15, vcc_lo, v13, v15, vcc_lo
	v_add_co_u32 v20, vcc_lo, v12, v32
	v_mov_b32_e32 v32, v35
	v_lshlrev_b64 v[35:36], 2, v[43:44]
	v_mad_u64_u32 v[41:42], null, s2, v49, 0
	v_add_co_ci_u32_e32 v21, vcc_lo, v13, v33, vcc_lo
	v_mad_u64_u32 v[32:33], null, s3, v45, v[32:33]
	v_add_co_u32 v39, vcc_lo, v12, v35
	v_mov_b32_e32 v33, v38
	v_add_co_ci_u32_e32 v40, vcc_lo, v13, v36, vcc_lo
	v_pack_b32_f16 v36, v82, v79
	global_store_dword v[14:15], v46, off
	global_store_dword v[20:21], v48, off
	;; [unrolled: 1-line block ×3, first 2 shown]
	v_mad_u64_u32 v[43:44], null, s3, v47, v[33:34]
	v_mov_b32_e32 v14, v42
	v_add_nc_u32_e32 v40, 0x483, v45
	v_mov_b32_e32 v35, v32
	v_pack_b32_f16 v44, v75, v80
	v_pack_b32_f16 v19, v59, v19
	v_mad_u64_u32 v[14:15], null, s3, v49, v[14:15]
	v_mad_u64_u32 v[32:33], null, s2, v40, 0
	v_mov_b32_e32 v38, v43
	v_add_nc_u32_e32 v43, 0x604, v45
	v_lshlrev_b64 v[20:21], 2, v[34:35]
	v_pack_b32_f16 v45, v78, v56
	v_mov_b32_e32 v42, v14
	v_lshlrev_b64 v[34:35], 2, v[37:38]
	v_mov_b32_e32 v14, v33
	v_mad_u64_u32 v[36:37], null, s2, v43, 0
	v_add_co_u32 v20, vcc_lo, v12, v20
	v_lshlrev_b64 v[38:39], 2, v[41:42]
	v_mad_u64_u32 v[14:15], null, s3, v40, v[14:15]
	v_mad_u64_u32 v[40:41], null, s2, v31, 0
	v_add_co_ci_u32_e32 v21, vcc_lo, v13, v21, vcc_lo
	v_add_co_u32 v34, vcc_lo, v12, v34
	v_mov_b32_e32 v15, v37
	v_add_co_ci_u32_e32 v35, vcc_lo, v13, v35, vcc_lo
	v_add_co_u32 v37, vcc_lo, v12, v38
	v_add_co_ci_u32_e32 v38, vcc_lo, v13, v39, vcc_lo
	v_mad_u64_u32 v[42:43], null, s3, v43, v[15:16]
	v_pack_b32_f16 v15, v76, v53
	v_mov_b32_e32 v33, v14
	v_mov_b32_e32 v14, v41
	global_store_dword v[20:21], v44, off
	global_store_dword v[34:35], v45, off
	v_fmac_f16_e32 v24, 0x34f2, v130
	global_store_dword v[37:38], v15, off
	v_lshlrev_b64 v[20:21], 2, v[32:33]
	v_mad_u64_u32 v[14:15], null, s3, v31, v[14:15]
	v_mad_u64_u32 v[31:32], null, s2, v30, 0
	v_mov_b32_e32 v37, v42
	v_add_co_u32 v20, vcc_lo, v12, v20
	v_add_co_ci_u32_e32 v21, vcc_lo, v13, v21, vcc_lo
	v_lshlrev_b64 v[33:34], 2, v[36:37]
	v_mov_b32_e32 v41, v14
	v_mov_b32_e32 v14, v32
	v_mad_u64_u32 v[35:36], null, s2, v29, 0
	v_pack_b32_f16 v42, v77, v58
	v_lshlrev_b64 v[37:38], 2, v[40:41]
	v_mad_u64_u32 v[14:15], null, s3, v30, v[14:15]
	v_mad_u64_u32 v[39:40], null, s2, v28, 0
	v_add_co_u32 v33, vcc_lo, v12, v33
	v_mov_b32_e32 v15, v36
	v_add_co_ci_u32_e32 v34, vcc_lo, v13, v34, vcc_lo
	v_add_co_u32 v36, vcc_lo, v12, v37
	v_add_co_ci_u32_e32 v37, vcc_lo, v13, v38, vcc_lo
	v_mad_u64_u32 v[29:30], null, s3, v29, v[15:16]
	v_pack_b32_f16 v15, v57, v18
	v_mov_b32_e32 v32, v14
	v_mov_b32_e32 v14, v40
	global_store_dword v[20:21], v42, off
	global_store_dword v[33:34], v19, off
	v_mad_u64_u32 v[20:21], null, s2, v27, 0
	global_store_dword v[36:37], v15, off
	v_mad_u64_u32 v[14:15], null, s3, v28, v[14:15]
	v_mov_b32_e32 v36, v29
	v_lshlrev_b64 v[18:19], 2, v[31:32]
	v_fmac_f16_e32 v25, 0x34f2, v129
	v_fmac_f16_e32 v17, 0x34f2, v130
	v_pack_b32_f16 v24, v24, v22
	v_lshlrev_b64 v[28:29], 2, v[35:36]
	v_mov_b32_e32 v40, v14
	v_mov_b32_e32 v14, v21
	v_mul_hi_u32 v21, 0x551c979b, v26
	v_add_co_u32 v18, vcc_lo, v12, v18
	v_lshlrev_b64 v[30:31], 2, v[39:40]
	v_mad_u64_u32 v[14:15], null, s3, v27, v[14:15]
	v_add_co_ci_u32_e32 v19, vcc_lo, v13, v19, vcc_lo
	v_lshrrev_b32_e32 v15, 7, v21
	v_add_co_u32 v28, vcc_lo, v12, v28
	v_add_co_ci_u32_e32 v29, vcc_lo, v13, v29, vcc_lo
	v_pack_b32_f16 v25, v25, v23
	v_add_co_u32 v22, vcc_lo, v12, v30
	v_mad_u32_u24 v27, 0x604, v15, v26
	v_add_co_ci_u32_e32 v23, vcc_lo, v13, v31, vcc_lo
	v_pack_b32_f16 v11, v17, v11
	v_mov_b32_e32 v21, v14
	global_store_dword v[18:19], v25, off
	global_store_dword v[28:29], v24, off
	;; [unrolled: 1-line block ×3, first 2 shown]
	v_add_nc_u32_e32 v25, 0x181, v27
	v_mad_u64_u32 v[17:18], null, s2, v27, 0
	v_lshlrev_b64 v[14:15], 2, v[20:21]
	v_add_nc_u32_e32 v28, 0x302, v27
	v_mad_u64_u32 v[19:20], null, s2, v25, 0
	v_add_nc_u32_e32 v29, 0x483, v27
	v_fmac_f16_e32 v4, 0x34f2, v144
	v_mov_b32_e32 v11, v18
	v_mad_u64_u32 v[21:22], null, s2, v28, 0
	v_add_co_u32 v14, vcc_lo, v12, v14
	v_mov_b32_e32 v18, v20
	v_mad_u64_u32 v[23:24], null, s3, v27, v[11:12]
	v_add_co_ci_u32_e32 v15, vcc_lo, v13, v15, vcc_lo
	v_mad_u64_u32 v[24:25], null, s3, v25, v[18:19]
	v_mad_u64_u32 v[25:26], null, s2, v29, 0
	v_pack_b32_f16 v11, v16, v9
	v_mov_b32_e32 v18, v23
	v_add_nc_u32_e32 v27, 0x604, v27
	v_mov_b32_e32 v9, v22
	v_mov_b32_e32 v20, v24
	global_store_dword v[14:15], v11, off
	v_lshlrev_b64 v[14:15], 2, v[17:18]
	v_mad_u64_u32 v[16:17], null, s2, v27, 0
	v_mad_u64_u32 v[22:23], null, s3, v28, v[9:10]
	v_mov_b32_e32 v9, v26
	v_add_co_u32 v14, vcc_lo, v12, v14
	v_fmac_f16_e32 v2, 0x34f2, v142
	v_fmac_f16_e32 v3, 0x34f2, v141
	v_mad_u64_u32 v[23:24], null, s3, v29, v[9:10]
	v_pack_b32_f16 v24, v10, v8
	v_lshlrev_b64 v[10:11], 2, v[19:20]
	v_mov_b32_e32 v9, v17
	v_lshlrev_b64 v[18:19], 2, v[21:22]
	v_add_co_ci_u32_e32 v15, vcc_lo, v13, v15, vcc_lo
	v_mov_b32_e32 v26, v23
	v_mad_u64_u32 v[8:9], null, s3, v27, v[9:10]
	v_add_co_u32 v9, vcc_lo, v12, v10
	v_lshlrev_b64 v[20:21], 2, v[25:26]
	v_add_co_ci_u32_e32 v10, vcc_lo, v13, v11, vcc_lo
	v_pack_b32_f16 v11, v3, v5
	v_mov_b32_e32 v17, v8
	v_add_co_u32 v18, vcc_lo, v12, v18
	v_pack_b32_f16 v8, v2, v4
	v_fmac_f16_e32 v1, 0x34f2, v144
	v_lshlrev_b64 v[2:3], 2, v[16:17]
	v_fmac_f16_e32 v7, 0x34f2, v142
	v_add_co_ci_u32_e32 v19, vcc_lo, v13, v19, vcc_lo
	v_fmac_f16_e32 v6, 0x34f2, v141
	v_add_co_u32 v4, vcc_lo, v12, v20
	v_add_co_ci_u32_e32 v5, vcc_lo, v13, v21, vcc_lo
	v_pack_b32_f16 v7, v7, v1
	v_add_co_u32 v1, vcc_lo, v12, v2
	v_add_co_ci_u32_e32 v2, vcc_lo, v13, v3, vcc_lo
	v_pack_b32_f16 v0, v6, v0
	global_store_dword v[14:15], v24, off
	global_store_dword v[9:10], v11, off
	;; [unrolled: 1-line block ×5, first 2 shown]
.LBB0_23:
	s_endpgm
	.section	.rodata,"a",@progbits
	.p2align	6, 0x0
	.amdhsa_kernel fft_rtc_fwd_len1925_factors_7_11_5_5_wgs_55_tpt_55_halfLds_half_ip_CI_sbrr_dirReg
		.amdhsa_group_segment_fixed_size 0
		.amdhsa_private_segment_fixed_size 0
		.amdhsa_kernarg_size 88
		.amdhsa_user_sgpr_count 6
		.amdhsa_user_sgpr_private_segment_buffer 1
		.amdhsa_user_sgpr_dispatch_ptr 0
		.amdhsa_user_sgpr_queue_ptr 0
		.amdhsa_user_sgpr_kernarg_segment_ptr 1
		.amdhsa_user_sgpr_dispatch_id 0
		.amdhsa_user_sgpr_flat_scratch_init 0
		.amdhsa_user_sgpr_private_segment_size 0
		.amdhsa_wavefront_size32 1
		.amdhsa_uses_dynamic_stack 0
		.amdhsa_system_sgpr_private_segment_wavefront_offset 0
		.amdhsa_system_sgpr_workgroup_id_x 1
		.amdhsa_system_sgpr_workgroup_id_y 0
		.amdhsa_system_sgpr_workgroup_id_z 0
		.amdhsa_system_sgpr_workgroup_info 0
		.amdhsa_system_vgpr_workitem_id 0
		.amdhsa_next_free_vgpr 256
		.amdhsa_next_free_sgpr 23
		.amdhsa_reserve_vcc 1
		.amdhsa_reserve_flat_scratch 0
		.amdhsa_float_round_mode_32 0
		.amdhsa_float_round_mode_16_64 0
		.amdhsa_float_denorm_mode_32 3
		.amdhsa_float_denorm_mode_16_64 3
		.amdhsa_dx10_clamp 1
		.amdhsa_ieee_mode 1
		.amdhsa_fp16_overflow 0
		.amdhsa_workgroup_processor_mode 1
		.amdhsa_memory_ordered 1
		.amdhsa_forward_progress 0
		.amdhsa_shared_vgpr_count 0
		.amdhsa_exception_fp_ieee_invalid_op 0
		.amdhsa_exception_fp_denorm_src 0
		.amdhsa_exception_fp_ieee_div_zero 0
		.amdhsa_exception_fp_ieee_overflow 0
		.amdhsa_exception_fp_ieee_underflow 0
		.amdhsa_exception_fp_ieee_inexact 0
		.amdhsa_exception_int_div_zero 0
	.end_amdhsa_kernel
	.text
.Lfunc_end0:
	.size	fft_rtc_fwd_len1925_factors_7_11_5_5_wgs_55_tpt_55_halfLds_half_ip_CI_sbrr_dirReg, .Lfunc_end0-fft_rtc_fwd_len1925_factors_7_11_5_5_wgs_55_tpt_55_halfLds_half_ip_CI_sbrr_dirReg
                                        ; -- End function
	.section	.AMDGPU.csdata,"",@progbits
; Kernel info:
; codeLenInByte = 29008
; NumSgprs: 25
; NumVgprs: 256
; ScratchSize: 0
; MemoryBound: 0
; FloatMode: 240
; IeeeMode: 1
; LDSByteSize: 0 bytes/workgroup (compile time only)
; SGPRBlocks: 3
; VGPRBlocks: 31
; NumSGPRsForWavesPerEU: 25
; NumVGPRsForWavesPerEU: 256
; Occupancy: 4
; WaveLimiterHint : 1
; COMPUTE_PGM_RSRC2:SCRATCH_EN: 0
; COMPUTE_PGM_RSRC2:USER_SGPR: 6
; COMPUTE_PGM_RSRC2:TRAP_HANDLER: 0
; COMPUTE_PGM_RSRC2:TGID_X_EN: 1
; COMPUTE_PGM_RSRC2:TGID_Y_EN: 0
; COMPUTE_PGM_RSRC2:TGID_Z_EN: 0
; COMPUTE_PGM_RSRC2:TIDIG_COMP_CNT: 0
	.text
	.p2alignl 6, 3214868480
	.fill 48, 4, 3214868480
	.type	__hip_cuid_4ee761c6460dc45e,@object ; @__hip_cuid_4ee761c6460dc45e
	.section	.bss,"aw",@nobits
	.globl	__hip_cuid_4ee761c6460dc45e
__hip_cuid_4ee761c6460dc45e:
	.byte	0                               ; 0x0
	.size	__hip_cuid_4ee761c6460dc45e, 1

	.ident	"AMD clang version 19.0.0git (https://github.com/RadeonOpenCompute/llvm-project roc-6.4.0 25133 c7fe45cf4b819c5991fe208aaa96edf142730f1d)"
	.section	".note.GNU-stack","",@progbits
	.addrsig
	.addrsig_sym __hip_cuid_4ee761c6460dc45e
	.amdgpu_metadata
---
amdhsa.kernels:
  - .args:
      - .actual_access:  read_only
        .address_space:  global
        .offset:         0
        .size:           8
        .value_kind:     global_buffer
      - .offset:         8
        .size:           8
        .value_kind:     by_value
      - .actual_access:  read_only
        .address_space:  global
        .offset:         16
        .size:           8
        .value_kind:     global_buffer
      - .actual_access:  read_only
        .address_space:  global
        .offset:         24
        .size:           8
        .value_kind:     global_buffer
      - .offset:         32
        .size:           8
        .value_kind:     by_value
      - .actual_access:  read_only
        .address_space:  global
        .offset:         40
        .size:           8
        .value_kind:     global_buffer
      - .actual_access:  read_only
        .address_space:  global
        .offset:         48
        .size:           8
        .value_kind:     global_buffer
      - .offset:         56
        .size:           4
        .value_kind:     by_value
      - .actual_access:  read_only
        .address_space:  global
        .offset:         64
        .size:           8
        .value_kind:     global_buffer
      - .actual_access:  read_only
        .address_space:  global
        .offset:         72
        .size:           8
        .value_kind:     global_buffer
      - .address_space:  global
        .offset:         80
        .size:           8
        .value_kind:     global_buffer
    .group_segment_fixed_size: 0
    .kernarg_segment_align: 8
    .kernarg_segment_size: 88
    .language:       OpenCL C
    .language_version:
      - 2
      - 0
    .max_flat_workgroup_size: 55
    .name:           fft_rtc_fwd_len1925_factors_7_11_5_5_wgs_55_tpt_55_halfLds_half_ip_CI_sbrr_dirReg
    .private_segment_fixed_size: 0
    .sgpr_count:     25
    .sgpr_spill_count: 0
    .symbol:         fft_rtc_fwd_len1925_factors_7_11_5_5_wgs_55_tpt_55_halfLds_half_ip_CI_sbrr_dirReg.kd
    .uniform_work_group_size: 1
    .uses_dynamic_stack: false
    .vgpr_count:     256
    .vgpr_spill_count: 0
    .wavefront_size: 32
    .workgroup_processor_mode: 1
amdhsa.target:   amdgcn-amd-amdhsa--gfx1030
amdhsa.version:
  - 1
  - 2
...

	.end_amdgpu_metadata
